;; amdgpu-corpus repo=ROCm/rccl kind=compiled arch=gfx906 opt=O3
	.amdgcn_target "amdgcn-amd-amdhsa--gfx906"
	.amdhsa_code_object_version 6
	.text
	.p2align	2                               ; -- Begin function _ZN12_GLOBAL__N_17runRingI14__hip_fp8_e4m38FuncProdIS1_E7ProtoLLLi0ELi1ELi0EEEviiP15ncclDevWorkColl
	.type	_ZN12_GLOBAL__N_17runRingI14__hip_fp8_e4m38FuncProdIS1_E7ProtoLLLi0ELi1ELi0EEEviiP15ncclDevWorkColl,@function
_ZN12_GLOBAL__N_17runRingI14__hip_fp8_e4m38FuncProdIS1_E7ProtoLLLi0ELi1ELi0EEEviiP15ncclDevWorkColl: ; @_ZN12_GLOBAL__N_17runRingI14__hip_fp8_e4m38FuncProdIS1_E7ProtoLLLi0ELi1ELi0EEEviiP15ncclDevWorkColl
; %bb.0:
	s_waitcnt vmcnt(0) expcnt(0) lgkmcnt(0)
	s_or_saveexec_b64 s[4:5], -1
	buffer_store_dword v63, off, s[0:3], s32 offset:236 ; 4-byte Folded Spill
	s_mov_b64 exec, s[4:5]
	buffer_store_dword v40, off, s[0:3], s32 offset:56 ; 4-byte Folded Spill
	buffer_store_dword v41, off, s[0:3], s32 offset:52 ; 4-byte Folded Spill
	;; [unrolled: 1-line block ×14, first 2 shown]
	buffer_store_dword v62, off, s[0:3], s32 ; 4-byte Folded Spill
	v_writelane_b32 v63, s34, 0
	v_writelane_b32 v63, s35, 1
	;; [unrolled: 1-line block ×9, first 2 shown]
	s_trap 2
	flat_load_dword v7, v[2:3]
	flat_load_dwordx4 v[10:13], v[2:3] offset:72
	flat_load_dwordx2 v[18:19], v[2:3] offset:88
	v_mov_b32_e32 v4, v0
	ds_read_b32 v5, v0
	s_waitcnt lgkmcnt(0)
	v_readfirstlane_b32 s20, v5
	s_waitcnt vmcnt(0)
	v_not_b32_sdwa v6, v7 dst_sel:DWORD dst_unused:UNUSED_PAD src0_sel:BYTE_0
	v_add_u32_sdwa v0, v7, v6 dst_sel:DWORD dst_unused:UNUSED_PAD src0_sel:BYTE_1 src1_sel:DWORD
	v_mul_lo_u32 v9, v13, v0
	v_mad_u64_u32 v[20:21], s[4:5], v12, v0, 0
	buffer_store_dword v10, off, s[0:3], s32 offset:116 ; 4-byte Folded Spill
	s_nop 0
	buffer_store_dword v11, off, s[0:3], s32 offset:120 ; 4-byte Folded Spill
	buffer_store_dword v12, off, s[0:3], s32 offset:124 ; 4-byte Folded Spill
	;; [unrolled: 1-line block ×3, first 2 shown]
	v_ashrrev_i32_e32 v8, 31, v0
	v_cmp_ne_u32_sdwa s[4:5], v5, v7 src0_sel:DWORD src1_sel:BYTE_0
	v_mul_lo_u32 v0, v12, v8
	ds_read_b64 v[24:25], v0
	v_add3_u32 v0, v21, v0, v9
                                        ; implicit-def: $vgpr21_vgpr22
                                        ; implicit-def: $vgpr8_vgpr9
                                        ; kill: killed $vgpr8_vgpr9
	s_and_saveexec_b64 s[6:7], s[4:5]
	s_xor_b64 s[4:5], exec, s[6:7]
	s_cbranch_execz .LBB0_6
; %bb.1:
	v_cmp_ne_u32_sdwa s[6:7], v5, v7 src0_sel:DWORD src1_sel:BYTE_1
                                        ; implicit-def: $vgpr21_vgpr22
                                        ; implicit-def: $vgpr7_vgpr8
                                        ; kill: killed $vgpr7_vgpr8
	s_and_saveexec_b64 s[10:11], s[6:7]
	s_xor_b64 s[6:7], exec, s[10:11]
	s_cbranch_execz .LBB0_3
; %bb.2:
	flat_load_dwordx2 v[7:8], v[2:3] offset:96
	buffer_load_dword v10, off, s[0:3], s32 offset:116 ; 4-byte Folded Reload
	buffer_load_dword v11, off, s[0:3], s32 offset:120 ; 4-byte Folded Reload
	;; [unrolled: 1-line block ×4, first 2 shown]
	v_add_u32_e32 v5, v5, v6
	v_ashrrev_i32_e32 v6, 31, v5
	s_waitcnt vmcnt(0)
	v_mul_lo_u32 v6, v12, v6
	v_mul_lo_u32 v9, v13, v5
	v_mad_u64_u32 v[10:11], s[10:11], v12, v5, v[10:11]
	s_waitcnt lgkmcnt(0)
	v_lshrrev_b64 v[21:22], 17, v[7:8]
	v_add3_u32 v11, v9, v11, v6
	buffer_store_dword v10, off, s[0:3], s32 offset:132 ; 4-byte Folded Spill
	s_nop 0
	buffer_store_dword v11, off, s[0:3], s32 offset:136 ; 4-byte Folded Spill
.LBB0_3:
	s_andn2_saveexec_b64 s[6:7], s[6:7]
	s_cbranch_execz .LBB0_5
; %bb.4:
	flat_load_dword v5, v[2:3] offset:100
	buffer_load_dword v6, off, s[0:3], s32 offset:116 ; 4-byte Folded Reload
	buffer_load_dword v7, off, s[0:3], s32 offset:120 ; 4-byte Folded Reload
	;; [unrolled: 1-line block ×4, first 2 shown]
	s_waitcnt vmcnt(0)
	v_add_co_u32_e32 v8, vcc, v20, v6
	v_addc_co_u32_e32 v9, vcc, v0, v7, vcc
	buffer_store_dword v8, off, s[0:3], s32 offset:132 ; 4-byte Folded Spill
	s_nop 0
	buffer_store_dword v9, off, s[0:3], s32 offset:136 ; 4-byte Folded Spill
	v_mov_b32_e32 v8, v18
	s_waitcnt lgkmcnt(0)
	v_lshrrev_b32_e32 v21, 6, v5
	v_mov_b32_e32 v9, v19
	buffer_store_dword v6, off, s[0:3], s32 offset:116 ; 4-byte Folded Spill
	s_nop 0
	buffer_store_dword v7, off, s[0:3], s32 offset:120 ; 4-byte Folded Spill
	buffer_store_dword v8, off, s[0:3], s32 offset:124 ; 4-byte Folded Spill
	;; [unrolled: 1-line block ×3, first 2 shown]
.LBB0_5:
	s_or_b64 exec, exec, s[6:7]
.LBB0_6:
	s_andn2_saveexec_b64 s[4:5], s[4:5]
	s_cbranch_execz .LBB0_8
; %bb.7:
	flat_load_dwordx2 v[5:6], v[2:3] offset:96
	s_waitcnt vmcnt(0) lgkmcnt(0)
	v_lshlrev_b64 v[21:22], 4, v[5:6]
	v_mov_b32_e32 v5, 0
	v_mov_b32_e32 v6, 0
	buffer_store_dword v5, off, s[0:3], s32 offset:132 ; 4-byte Folded Spill
	s_nop 0
	buffer_store_dword v6, off, s[0:3], s32 offset:136 ; 4-byte Folded Spill
	buffer_load_dword v5, off, s[0:3], s32 offset:116 ; 4-byte Folded Reload
	s_nop 0
	buffer_load_dword v6, off, s[0:3], s32 offset:120 ; 4-byte Folded Reload
	buffer_load_dword v7, off, s[0:3], s32 offset:124 ; 4-byte Folded Reload
	;; [unrolled: 1-line block ×3, first 2 shown]
	s_waitcnt vmcnt(0)
	v_mov_b32_e32 v8, v6
	v_mov_b32_e32 v7, v5
	buffer_store_dword v5, off, s[0:3], s32 offset:116 ; 4-byte Folded Spill
	s_nop 0
	buffer_store_dword v6, off, s[0:3], s32 offset:120 ; 4-byte Folded Spill
	buffer_store_dword v7, off, s[0:3], s32 offset:124 ; 4-byte Folded Spill
	;; [unrolled: 1-line block ×3, first 2 shown]
.LBB0_8:
	s_or_b64 exec, exec, s[4:5]
	flat_load_dwordx4 v[5:8], v[2:3] offset:16
	v_mov_b32_e32 v26, 0
	s_mov_b32 s6, 0
	v_mov_b32_e32 v27, 0
	s_waitcnt vmcnt(0) lgkmcnt(0)
	buffer_store_dword v5, off, s[0:3], s32 offset:168 ; 4-byte Folded Spill
	s_nop 0
	buffer_store_dword v6, off, s[0:3], s32 offset:172 ; 4-byte Folded Spill
	buffer_store_dword v7, off, s[0:3], s32 offset:176 ; 4-byte Folded Spill
	;; [unrolled: 1-line block ×3, first 2 shown]
	flat_load_ushort v6, v[2:3] offset:8
	s_nop 0
	flat_load_dword v5, v[2:3] offset:4
	s_load_dword s4, s[8:9], 0x0
	s_waitcnt lgkmcnt(0)
	s_cmp_lt_u32 s12, s4
	s_cselect_b32 s4, 12, 18
	s_add_u32 s4, s8, s4
	s_addc_u32 s5, s9, 0
	s_waitcnt vmcnt(0)
	v_lshrrev_b64 v[2:3], 31, v[5:6]
	v_mov_b32_e32 v3, 0
	global_load_ushort v12, v3, s[4:5]
	v_ashrrev_i32_e32 v5, 31, v4
	v_and_b32_e32 v7, 3, v2
	v_lshrrev_b32_e32 v2, 26, v5
	v_add_u32_e32 v2, v4, v2
	v_and_b32_e32 v2, 0xffffffc0, v2
	v_sub_u32_e32 v6, v4, v2
	s_trap 2
	ds_read_b32 v2, v0
	v_cmp_eq_u32_e64 s[4:5], 0, v6
	s_waitcnt lgkmcnt(0)
	v_cmp_gt_i32_e32 vcc, 0, v2
	v_readfirstlane_b32 s8, v2
	s_cbranch_vccnz .LBB0_10
; %bb.9:
	s_trap 2
	ds_read_b64 v[8:9], v0
	v_lshlrev_b64 v[2:3], 3, v[2:3]
	s_movk_i32 s6, 0xa8
	s_waitcnt lgkmcnt(0)
	v_add_co_u32_e32 v2, vcc, v8, v2
	v_addc_co_u32_e32 v3, vcc, v9, v3, vcc
	flat_load_dwordx2 v[2:3], v[2:3]
	v_and_b32_e32 v8, 0xffff, v7
	s_waitcnt vmcnt(0) lgkmcnt(0)
	v_mad_u64_u32 v[2:3], s[6:7], v8, s6, v[2:3]
	s_mov_b32 s6, 1
	flat_load_dwordx2 v[8:9], v[2:3] offset:504
	v_add_co_u32_e32 v28, vcc, 0x1f8, v2
	v_addc_co_u32_e32 v29, vcc, 0, v3, vcc
	s_waitcnt vmcnt(0) lgkmcnt(0)
	buffer_store_dword v8, off, s[0:3], s32 offset:76 ; 4-byte Folded Spill
	s_nop 0
	buffer_store_dword v9, off, s[0:3], s32 offset:80 ; 4-byte Folded Spill
	flat_load_dwordx2 v[36:37], v[2:3] offset:608
	v_cndmask_b32_e64 v3, 0, v29, s[4:5]
	v_cndmask_b32_e64 v2, 0, v28, s[4:5]
	s_branch .LBB0_11
.LBB0_10:
	v_mov_b32_e32 v28, 0
	v_mov_b32_e32 v2, 0
	;; [unrolled: 1-line block ×4, first 2 shown]
                                        ; implicit-def: $vgpr36_vgpr37
                                        ; implicit-def: $vgpr8_vgpr9
                                        ; kill: killed $vgpr8_vgpr9
.LBB0_11:
	s_trap 2
	ds_read_b32 v14, v0
	s_waitcnt lgkmcnt(0)
	v_cmp_gt_i32_e32 vcc, 0, v14
	s_cbranch_vccnz .LBB0_13
; %bb.12:
	s_trap 2
	ds_read_b64 v[8:9], v0
	v_mov_b32_e32 v15, 0
	v_lshlrev_b64 v[10:11], 3, v[14:15]
	v_and_b32_e32 v7, 0xffff, v7
	s_movk_i32 s4, 0xa8
	s_waitcnt lgkmcnt(0)
	v_add_co_u32_e32 v8, vcc, v8, v10
	v_addc_co_u32_e32 v9, vcc, v9, v11, vcc
	flat_load_dwordx2 v[8:9], v[8:9]
	v_cmp_eq_u32_e32 vcc, 0, v6
	s_waitcnt vmcnt(0) lgkmcnt(0)
	v_mad_u64_u32 v[26:27], s[4:5], v7, s4, v[8:9]
	flat_load_dwordx2 v[38:39], v[26:27]
	flat_load_dwordx2 v[22:23], v[26:27] offset:104
	v_cndmask_b32_e32 v17, 0, v27, vcc
	v_cndmask_b32_e32 v16, 0, v26, vcc
	s_branch .LBB0_14
.LBB0_13:
	v_mov_b32_e32 v16, 0
	v_mov_b32_e32 v17, 0
                                        ; implicit-def: $vgpr22_vgpr23
                                        ; implicit-def: $vgpr38_vgpr39
.LBB0_14:
	v_subrev_u32_e32 v7, 64, v1
	v_cmp_ge_i32_e32 vcc, v4, v7
	v_cmp_gt_i32_e64 s[4:5], s6, v6
	v_mov_b32_e32 v14, 0
	v_mov_b32_e32 v6, 0
	;; [unrolled: 1-line block ×4, first 2 shown]
	s_and_b64 s[22:23], vcc, s[4:5]
	buffer_store_dword v6, off, s[0:3], s32 offset:68 ; 4-byte Folded Spill
	s_nop 0
	buffer_store_dword v7, off, s[0:3], s32 offset:72 ; 4-byte Folded Spill
                                        ; implicit-def: $vgpr48_vgpr49
	s_and_saveexec_b64 s[4:5], s[22:23]
	s_cbranch_execz .LBB0_16
; %bb.15:
	flat_load_dwordx2 v[6:7], v[2:3] offset:56
	s_waitcnt vmcnt(0) lgkmcnt(0)
	buffer_store_dword v6, off, s[0:3], s32 offset:68 ; 4-byte Folded Spill
	s_nop 0
	buffer_store_dword v7, off, s[0:3], s32 offset:72 ; 4-byte Folded Spill
	flat_load_dwordx2 v[48:49], v[2:3] offset:104
.LBB0_16:
	s_or_b64 exec, exec, s[4:5]
	v_mov_b32_e32 v52, 0
	v_mov_b32_e32 v53, 0
	v_cmp_gt_i32_e64 s[4:5], s6, v4
                                        ; implicit-def: $vgpr54_vgpr55
	s_and_saveexec_b64 s[6:7], s[4:5]
	s_cbranch_execz .LBB0_18
; %bb.17:
	flat_load_dwordx2 v[52:53], v[16:17] offset:56
	s_waitcnt vmcnt(0) lgkmcnt(0)
	flat_load_dwordx2 v[54:55], v[52:53] glc
	s_waitcnt vmcnt(0)
	flat_load_dwordx4 v[14:17], v[16:17] offset:96
.LBB0_18:
	s_or_b64 exec, exec, s[6:7]
	buffer_load_dword v8, off, s[0:3], s32 offset:116 ; 4-byte Folded Reload
	buffer_load_dword v9, off, s[0:3], s32 offset:120 ; 4-byte Folded Reload
	;; [unrolled: 1-line block ×4, first 2 shown]
	v_mov_b32_e32 v2, 0
	v_mov_b32_e32 v3, 0
	s_waitcnt vmcnt(0)
	v_cmp_ne_u64_e32 vcc, 0, v[10:11]
	s_and_saveexec_b64 s[24:25], vcc
	s_cbranch_execz .LBB0_658
; %bb.19:
	v_add_co_u32_e32 v2, vcc, v18, v8
	s_ashr_i32 s6, s8, 31
	v_addc_co_u32_e32 v3, vcc, v19, v9, vcc
	s_lshr_b32 s6, s6, 29
	v_add_co_u32_e32 v2, vcc, v2, v20
	s_ashr_i32 s21, s20, 31
	s_add_i32 s8, s8, s6
	v_addc_co_u32_e32 v0, vcc, v3, v0, vcc
	s_lshl_b64 s[6:7], s[20:21], 2
	buffer_store_dword v28, off, s[0:3], s32 offset:228 ; 4-byte Folded Spill
	s_nop 0
	buffer_store_dword v29, off, s[0:3], s32 offset:232 ; 4-byte Folded Spill
	buffer_store_dword v26, off, s[0:3], s32 offset:220 ; 4-byte Folded Spill
	s_nop 0
	buffer_store_dword v27, off, s[0:3], s32 offset:224 ; 4-byte Folded Spill
	buffer_store_dword v2, off, s[0:3], s32 offset:60 ; 4-byte Folded Spill
	;; [unrolled: 1-line block ×3, first 2 shown]
	v_mov_b32_e32 v0, s7
	v_add_co_u32_e32 v2, vcc, s6, v24
	v_addc_co_u32_e32 v0, vcc, v25, v0, vcc
	v_add_co_u32_e32 v2, vcc, -4, v2
	v_addc_co_u32_e32 v3, vcc, -1, v0, vcc
	v_and_b32_e32 v0, 63, v31
	v_cmp_eq_u32_e64 s[12:13], 0, v0
	v_lshrrev_b32_e32 v0, 6, v1
	buffer_store_dword v2, off, s[0:3], s32 offset:148 ; 4-byte Folded Spill
	s_nop 0
	buffer_store_dword v3, off, s[0:3], s32 offset:152 ; 4-byte Folded Spill
	buffer_store_dword v12, off, s[0:3], s32 offset:216 ; 4-byte Folded Spill
	;; [unrolled: 1-line block ×4, first 2 shown]
	buffer_load_dword v6, off, s[0:3], s32 offset:168 ; 4-byte Folded Reload
	buffer_load_dword v7, off, s[0:3], s32 offset:172 ; 4-byte Folded Reload
	;; [unrolled: 1-line block ×4, first 2 shown]
	v_cmp_ne_u32_sdwa s[40:41], v1, v12 src0_sel:DWORD src1_sel:WORD_0
	v_lshlrev_b32_e32 v12, 3, v4
	v_ashrrev_i32_e32 v18, 31, v12
	v_mov_b32_e32 v43, 0
	s_ashr_i32 s10, s8, 3
	s_ashr_i32 s34, s8, 7
	s_and_b32 s21, s10, -16
	v_cmp_ne_u64_e64 s[6:7], 0, v[52:53]
	s_waitcnt lgkmcnt(0)
	v_cmp_ne_u64_e64 s[8:9], 0, v[14:15]
	s_cmp_gt_i32 s20, 2
	v_mov_b32_e32 v50, 0
	v_and_b32_e32 v28, 0x1fffff0, v21
	s_mov_b32 s27, 0
	v_mov_b32_e32 v29, v43
	s_mov_b64 s[28:29], 0
	v_cmp_ne_u32_e64 s[10:11], 64, v1
	v_lshlrev_b32_e32 v13, 3, v1
	s_cselect_b64 s[42:43], -1, 0
	v_lshlrev_b32_e32 v34, 6, v1
	v_mov_b32_e32 v51, 0
	s_mov_b64 s[44:45], 0x7ffffff8
	s_movk_i32 s35, 0xff
	s_movk_i32 s36, 0x80
	;; [unrolled: 1-line block ×3, first 2 shown]
	s_mov_b64 s[46:47], 0x7f800000
	s_mov_b64 s[56:57], 0x43e00001
	s_movk_i32 s38, 0x7a
	s_mov_b64 s[58:59], 0xffffff
	s_mov_b32 s39, 0xffffff
	v_bfrev_b32_e32 v27, 60
	v_mov_b32_e32 v40, 0
	s_waitcnt vmcnt(1)
	v_add_co_u32_e32 v0, vcc, v8, v12
	buffer_store_dword v0, off, s[0:3], s32 offset:188 ; 4-byte Folded Spill
	s_waitcnt vmcnt(1)
	v_addc_co_u32_e32 v0, vcc, v9, v18, vcc
	buffer_store_dword v0, off, s[0:3], s32 offset:192 ; 4-byte Folded Spill
	buffer_load_dword v2, off, s[0:3], s32 offset:68 ; 4-byte Folded Reload
	buffer_load_dword v3, off, s[0:3], s32 offset:72 ; 4-byte Folded Reload
	v_add_co_u32_e32 v0, vcc, v6, v12
	buffer_store_dword v0, off, s[0:3], s32 offset:196 ; 4-byte Folded Spill
	v_addc_co_u32_e32 v0, vcc, v7, v18, vcc
	buffer_store_dword v0, off, s[0:3], s32 offset:200 ; 4-byte Folded Spill
	s_waitcnt vmcnt(2)
	v_cmp_ne_u64_e64 s[14:15], 0, v[2:3]
	buffer_load_dword v2, off, s[0:3], s32 offset:132 ; 4-byte Folded Reload
	buffer_load_dword v3, off, s[0:3], s32 offset:136 ; 4-byte Folded Reload
	s_waitcnt vmcnt(1)
	v_add_co_u32_e32 v0, vcc, v2, v8
	s_waitcnt vmcnt(0)
	v_addc_co_u32_e32 v2, vcc, v3, v9, vcc
	v_add_co_u32_e32 v61, vcc, v0, v12
	v_addc_co_u32_e32 v62, vcc, v2, v18, vcc
	v_lshlrev_b64 v[2:3], 4, v[4:5]
	v_mov_b32_e32 v5, 0x78
	v_add_co_u32_e32 v0, vcc, v38, v2
	v_mov_b32_e32 v2, v43
	buffer_store_dword v0, off, s[0:3], s32 offset:204 ; 4-byte Folded Spill
	v_addc_co_u32_e32 v0, vcc, v39, v3, vcc
	v_lshlrev_b64 v[44:45], 4, v[1:2]
	v_mov_b32_e32 v2, 0
	v_mov_b32_e32 v3, 0
	;; [unrolled: 1-line block ×4, first 2 shown]
	buffer_store_dword v18, off, s[0:3], s32 offset:184 ; 4-byte Folded Spill
	buffer_store_dword v0, off, s[0:3], s32 offset:208 ; 4-byte Folded Spill
	;; [unrolled: 1-line block ×4, first 2 shown]
	s_nop 0
	buffer_store_dword v29, off, s[0:3], s32 offset:144 ; 4-byte Folded Spill
	s_branch .LBB0_21
.LBB0_20:                               ;   in Loop: Header=BB0_21 Depth=1
	s_or_b64 exec, exec, s[16:17]
	v_add_co_u32_e32 v36, vcc, 1, v36
	v_addc_co_u32_e32 v37, vcc, 0, v37, vcc
	v_add_co_u32_e32 v50, vcc, v50, v28
	v_addc_co_u32_e32 v51, vcc, 0, v51, vcc
	;; [unrolled: 2-line block ×3, first 2 shown]
	v_cmp_ge_u64_e32 vcc, v[50:51], v[10:11]
	s_or_b64 s[28:29], vcc, s[28:29]
	s_andn2_b64 exec, exec, s[28:29]
	s_cbranch_execz .LBB0_657
.LBB0_21:                               ; =>This Loop Header: Depth=1
                                        ;     Child Loop BB0_26 Depth 2
                                        ;     Child Loop BB0_45 Depth 2
                                        ;     Child Loop BB0_59 Depth 2
                                        ;     Child Loop BB0_66 Depth 2
                                        ;     Child Loop BB0_70 Depth 2
                                        ;       Child Loop BB0_75 Depth 3
                                        ;       Child Loop BB0_94 Depth 3
	;; [unrolled: 1-line block ×3, first 2 shown]
                                        ;         Child Loop BB0_116 Depth 4
                                        ;       Child Loop BB0_356 Depth 3
                                        ;       Child Loop BB0_365 Depth 3
                                        ;     Child Loop BB0_377 Depth 2
                                        ;       Child Loop BB0_385 Depth 3
                                        ;     Child Loop BB0_644 Depth 2
	buffer_load_dword v6, off, s[0:3], s32 offset:148 ; 4-byte Folded Reload
	buffer_load_dword v7, off, s[0:3], s32 offset:152 ; 4-byte Folded Reload
	s_waitcnt vmcnt(0) lgkmcnt(0)
	flat_load_dword v0, v[6:7]
	v_sub_co_u32_e32 v6, vcc, v10, v50
	v_subb_co_u32_e32 v7, vcc, v11, v51, vcc
	v_cmp_lt_u64_e32 vcc, v[28:29], v[6:7]
	v_cndmask_b32_e32 v7, v6, v28, vcc
	v_lshl_add_u32 v6, v7, 1, 14
	v_and_b32_e32 v6, 0x7fffff0, v6
	buffer_store_dword v6, off, s[0:3], s32 offset:92 ; 4-byte Folded Spill
	s_and_saveexec_b64 s[18:19], s[6:7]
	s_cbranch_execz .LBB0_37
; %bb.22:                               ;   in Loop: Header=BB0_21 Depth=1
	v_add_co_u32_e32 v18, vcc, 1, v16
	v_addc_co_u32_e32 v19, vcc, 0, v17, vcc
	v_add_co_u32_e32 v10, vcc, 8, v54
	v_addc_co_u32_e32 v11, vcc, 0, v55, vcc
	v_cmp_lt_u64_e32 vcc, v[10:11], v[18:19]
	s_and_saveexec_b64 s[60:61], vcc
	s_cbranch_execz .LBB0_34
; %bb.23:                               ;   in Loop: Header=BB0_21 Depth=1
	s_mov_b32 s26, 0
	v_cmp_eq_u32_e32 vcc, 0, v40
	s_mov_b64 s[62:63], 0
                                        ; implicit-def: $sgpr72_sgpr73
                                        ; implicit-def: $sgpr74_sgpr75
                                        ; implicit-def: $sgpr76_sgpr77
	s_branch .LBB0_26
.LBB0_24:                               ;   in Loop: Header=BB0_26 Depth=2
	s_or_b64 exec, exec, s[94:95]
	s_andn2_b64 s[16:17], s[76:77], exec
	s_and_b64 s[76:77], s[90:91], exec
	s_or_b64 s[76:77], s[16:17], s[76:77]
	s_andn2_b64 s[16:17], s[74:75], exec
	s_and_b64 s[74:75], s[88:89], exec
	v_mov_b32_e32 v11, 0
	s_or_b64 s[74:75], s[16:17], s[74:75]
.LBB0_25:                               ;   in Loop: Header=BB0_26 Depth=2
	s_or_b64 exec, exec, s[78:79]
	s_and_b64 s[16:17], exec, s[74:75]
	s_or_b64 s[62:63], s[16:17], s[62:63]
	s_andn2_b64 s[16:17], s[72:73], exec
	s_and_b64 s[72:73], s[76:77], exec
	s_or_b64 s[72:73], s[16:17], s[72:73]
	s_andn2_b64 exec, exec, s[62:63]
	s_cbranch_execz .LBB0_31
.LBB0_26:                               ;   Parent Loop BB0_21 Depth=1
                                        ; =>  This Inner Loop Header: Depth=2
	s_sleep 1
	s_waitcnt vmcnt(0) lgkmcnt(0)
	flat_load_dwordx2 v[54:55], v[52:53] glc
	s_or_b64 s[76:77], s[76:77], exec
	s_or_b64 s[74:75], s[74:75], exec
	v_mov_b32_e32 v11, v40
                                        ; implicit-def: $vgpr10
	s_and_saveexec_b64 s[78:79], vcc
	s_cbranch_execz .LBB0_25
; %bb.27:                               ;   in Loop: Header=BB0_26 Depth=2
	s_add_i32 s26, s26, 1
	s_cmpk_lg_i32 s26, 0x2710
	s_cselect_b64 s[92:93], -1, 0
	s_cmpk_eq_i32 s26, 0x2710
	s_mov_b64 s[88:89], -1
	s_mov_b64 s[90:91], -1
                                        ; implicit-def: $vgpr10
	s_cbranch_scc1 .LBB0_29
; %bb.28:                               ;   in Loop: Header=BB0_26 Depth=2
	s_and_saveexec_b64 s[94:95], s[92:93]
	s_cbranch_execz .LBB0_24
	s_branch .LBB0_30
.LBB0_29:                               ;   in Loop: Header=BB0_26 Depth=2
	s_trap 2
	s_waitcnt vmcnt(0) lgkmcnt(0)
	ds_read_b64 v[10:11], v0
	s_andn2_b64 s[92:93], s[92:93], exec
	s_mov_b32 s26, 0
	s_mov_b64 s[90:91], 0
	s_waitcnt lgkmcnt(0)
	flat_load_dword v10, v[10:11] glc
	s_waitcnt vmcnt(0) lgkmcnt(0)
	buffer_wbinvl1_vol
	v_cmp_eq_u32_e64 s[16:17], 0, v10
	s_and_b64 s[16:17], s[16:17], exec
	s_or_b64 s[92:93], s[92:93], s[16:17]
	s_and_saveexec_b64 s[94:95], s[92:93]
	s_cbranch_execz .LBB0_24
.LBB0_30:                               ;   in Loop: Header=BB0_26 Depth=2
	s_waitcnt vmcnt(0) lgkmcnt(0)
	v_add_co_u32_e64 v11, s[16:17], 8, v54
	v_addc_co_u32_e64 v12, s[16:17], 0, v55, s[16:17]
	v_cmp_ge_u64_e64 s[16:17], v[11:12], v[18:19]
	s_or_b64 s[90:91], s[90:91], exec
	s_orn2_b64 s[88:89], s[16:17], exec
	s_branch .LBB0_24
.LBB0_31:                               ;   in Loop: Header=BB0_21 Depth=1
	s_or_b64 exec, exec, s[62:63]
	s_xor_b64 s[16:17], s[72:73], -1
	s_and_saveexec_b64 s[62:63], s[16:17]
	s_xor_b64 s[16:17], exec, s[62:63]
	s_cbranch_execz .LBB0_33
; %bb.32:                               ;   in Loop: Header=BB0_21 Depth=1
	v_mov_b32_e32 v11, 1
	s_waitcnt vmcnt(0) lgkmcnt(0)
	ds_write_b32 v0, v10
	s_trap 2
.LBB0_33:                               ;   in Loop: Header=BB0_21 Depth=1
	s_or_b64 exec, exec, s[16:17]
	v_mov_b32_e32 v40, v11
.LBB0_34:                               ;   in Loop: Header=BB0_21 Depth=1
	s_or_b64 exec, exec, s[60:61]
	s_and_saveexec_b64 s[16:17], s[8:9]
	s_cbranch_execz .LBB0_36
; %bb.35:                               ;   in Loop: Header=BB0_21 Depth=1
	buffer_load_dword v12, off, s[0:3], s32 offset:92 ; 4-byte Folded Reload
	v_and_b32_e32 v42, 0x7ffffff8, v16
	v_and_b32_e32 v6, 7, v16
	v_mad_u64_u32 v[10:11], s[60:61], v6, 24, v[14:15]
	v_cmp_eq_u64_e32 vcc, s[44:45], v[42:43]
	v_mov_b32_e32 v6, s21
	s_waitcnt vmcnt(0)
	v_cndmask_b32_e32 v16, v12, v6, vcc
	v_ashrrev_i32_e32 v17, 31, v16
	flat_store_dwordx2 v[10:11], v[16:17] offset:8
	s_waitcnt vmcnt(0)
.LBB0_36:                               ;   in Loop: Header=BB0_21 Depth=1
	s_or_b64 exec, exec, s[16:17]
	v_mov_b32_e32 v16, v18
	v_mov_b32_e32 v17, v19
.LBB0_37:                               ;   in Loop: Header=BB0_21 Depth=1
	s_or_b64 exec, exec, s[18:19]
	s_and_saveexec_b64 s[16:17], s[10:11]
	s_cbranch_execz .LBB0_56
; %bb.38:                               ;   in Loop: Header=BB0_21 Depth=1
	s_and_saveexec_b64 s[18:19], s[40:41]
	s_xor_b64 s[18:19], exec, s[18:19]
	s_cbranch_execz .LBB0_53
; %bb.39:                               ;   in Loop: Header=BB0_21 Depth=1
	s_and_saveexec_b64 s[60:61], s[12:13]
	s_cbranch_execz .LBB0_52
; %bb.40:                               ;   in Loop: Header=BB0_21 Depth=1
	s_mov_b64 s[72:73], exec
	v_mbcnt_lo_u32_b32 v6, s72, 0
	v_mbcnt_hi_u32_b32 v6, s73, v6
	v_cmp_eq_u32_e32 vcc, 0, v6
	s_waitcnt vmcnt(0) lgkmcnt(0)
	buffer_wbinvl1_vol
	s_and_saveexec_b64 s[62:63], vcc
	s_cbranch_execz .LBB0_42
; %bb.41:                               ;   in Loop: Header=BB0_21 Depth=1
	s_bcnt1_i32_b64 s26, s[72:73]
	v_mov_b32_e32 v42, s26
	ds_add_u64 v0, v[42:43]
	s_trap 2
.LBB0_42:                               ;   in Loop: Header=BB0_21 Depth=1
	s_or_b64 exec, exec, s[62:63]
	s_trap 2
	ds_read_b64 v[10:11], v0
	s_waitcnt lgkmcnt(0)
	buffer_load_dword v6, off, s[0:3], s32 offset:96 ; 4-byte Folded Reload
	s_waitcnt vmcnt(0)
	v_add_co_u32_e32 v2, vcc, v2, v6
	v_addc_co_u32_e32 v3, vcc, 0, v3, vcc
	v_cmp_lt_u64_e32 vcc, v[10:11], v[2:3]
	s_and_saveexec_b64 s[62:63], vcc
	s_cbranch_execz .LBB0_51
; %bb.43:                               ;   in Loop: Header=BB0_21 Depth=1
	s_mov_b32 s26, 0
	s_mov_b64 s[72:73], 0
                                        ; implicit-def: $sgpr74_sgpr75
                                        ; implicit-def: $sgpr76_sgpr77
	s_branch .LBB0_45
.LBB0_44:                               ;   in Loop: Header=BB0_45 Depth=2
	s_or_b64 exec, exec, s[88:89]
	s_and_b64 s[78:79], exec, s[90:91]
	s_or_b64 s[72:73], s[78:79], s[72:73]
	s_andn2_b64 s[74:75], s[74:75], exec
	s_and_b64 s[78:79], s[76:77], exec
	s_or_b64 s[74:75], s[74:75], s[78:79]
	s_andn2_b64 exec, exec, s[72:73]
	s_cbranch_execz .LBB0_49
.LBB0_45:                               ;   Parent Loop BB0_21 Depth=1
                                        ; =>  This Inner Loop Header: Depth=2
	s_add_i32 s26, s26, 1
	s_cmpk_lg_i32 s26, 0x2710
	s_cselect_b64 s[78:79], -1, 0
	s_and_b64 vcc, exec, s[78:79]
	s_cbranch_vccz .LBB0_47
; %bb.46:                               ;   in Loop: Header=BB0_45 Depth=2
	s_mov_b64 s[90:91], -1
	s_or_b64 s[76:77], s[76:77], exec
	s_and_saveexec_b64 s[88:89], s[78:79]
	s_cbranch_execz .LBB0_44
	s_branch .LBB0_48
.LBB0_47:                               ;   in Loop: Header=BB0_45 Depth=2
	s_trap 2
	ds_read_b64 v[10:11], v0
	s_andn2_b64 s[78:79], s[78:79], exec
	s_mov_b32 s26, 0
	s_waitcnt lgkmcnt(0)
	flat_load_dword v6, v[10:11] glc
	s_waitcnt vmcnt(0) lgkmcnt(0)
	buffer_wbinvl1_vol
	v_cmp_eq_u32_e32 vcc, 0, v6
	s_and_b64 s[88:89], vcc, exec
	s_or_b64 s[78:79], s[78:79], s[88:89]
	s_mov_b64 s[90:91], -1
	s_or_b64 s[76:77], s[76:77], exec
	s_and_saveexec_b64 s[88:89], s[78:79]
	s_cbranch_execz .LBB0_44
.LBB0_48:                               ;   in Loop: Header=BB0_45 Depth=2
	s_sleep 1
	s_trap 2
	ds_read_b64 v[10:11], v0
	s_waitcnt lgkmcnt(0)
	s_andn2_b64 s[76:77], s[76:77], exec
	v_cmp_ge_u64_e32 vcc, v[10:11], v[2:3]
	s_orn2_b64 s[90:91], vcc, exec
	s_branch .LBB0_44
.LBB0_49:                               ;   in Loop: Header=BB0_21 Depth=1
	s_or_b64 exec, exec, s[72:73]
	s_and_saveexec_b64 s[72:73], s[74:75]
	s_xor_b64 s[72:73], exec, s[72:73]
	s_cbranch_execz .LBB0_51
; %bb.50:                               ;   in Loop: Header=BB0_21 Depth=1
	v_mov_b32_e32 v6, 1
	ds_write_b32 v0, v6
	s_trap 2
.LBB0_51:                               ;   in Loop: Header=BB0_21 Depth=1
	s_or_b64 exec, exec, s[62:63]
	;;#ASMSTART
	s_wakeup
	;;#ASMEND
.LBB0_52:                               ;   in Loop: Header=BB0_21 Depth=1
	s_or_b64 exec, exec, s[60:61]
.LBB0_53:                               ;   in Loop: Header=BB0_21 Depth=1
	s_andn2_saveexec_b64 s[18:19], s[18:19]
	s_cbranch_execz .LBB0_55
; %bb.54:                               ;   in Loop: Header=BB0_21 Depth=1
	s_waitcnt vmcnt(0) lgkmcnt(0)
	buffer_wbinvl1_vol
	s_barrier
.LBB0_55:                               ;   in Loop: Header=BB0_21 Depth=1
	s_or_b64 exec, exec, s[18:19]
.LBB0_56:                               ;   in Loop: Header=BB0_21 Depth=1
	s_or_b64 exec, exec, s[16:17]
	v_lshlrev_b32_e32 v6, 3, v4
	v_sub_u32_e32 v26, v7, v6
	v_cmp_lt_i32_e64 s[16:17], 0, v26
	v_and_b32_e32 v7, 7, v22
	v_add_u32_e32 v19, 1, v22
	v_mov_b32_e32 v32, v4
	s_and_saveexec_b64 s[18:19], s[16:17]
	s_cbranch_execz .LBB0_64
; %bb.57:                               ;   in Loop: Header=BB0_21 Depth=1
	buffer_load_dword v11, off, s[0:3], s32 offset:60 ; 4-byte Folded Reload
	buffer_load_dword v12, off, s[0:3], s32 offset:64 ; 4-byte Folded Reload
	s_waitcnt vmcnt(0) lgkmcnt(0)
	v_ashrrev_i32_e32 v6, 31, v0
	v_mul_lo_u32 v10, v7, s34
	v_mov_b32_e32 v32, v4
	v_mad_u64_u32 v[30:31], s[60:61], v11, v0, v[61:62]
	v_mul_lo_u32 v12, v12, v0
	v_mul_lo_u32 v6, v11, v6
	;; [unrolled: 1-line block ×3, first 2 shown]
	v_ashrrev_i32_e32 v11, 31, v10
	v_lshlrev_b64 v[10:11], 4, v[10:11]
	v_add3_u32 v31, v12, v31, v6
	buffer_load_dword v6, off, s[0:3], s32 offset:204 ; 4-byte Folded Reload
	v_add_lshl_u32 v0, v61, v0, 3
	s_mov_b64 s[60:61], 0
	s_waitcnt vmcnt(0)
	v_add_co_u32_e32 v56, vcc, v6, v10
	buffer_load_dword v6, off, s[0:3], s32 offset:208 ; 4-byte Folded Reload
	v_mov_b32_e32 v10, v26
	s_waitcnt vmcnt(0)
	v_addc_co_u32_e32 v57, vcc, v6, v11, vcc
	s_branch .LBB0_59
.LBB0_58:                               ;   in Loop: Header=BB0_59 Depth=2
	s_or_b64 exec, exec, s[62:63]
	v_add_co_u32_e32 v30, vcc, v30, v13
	v_sub_u32_e32 v10, v10, v13
	v_addc_co_u32_e32 v31, vcc, 0, v31, vcc
	s_waitcnt vmcnt(0)
	v_alignbit_b32 v18, v12, v6, v0
	v_alignbit_b32 v20, v11, v12, v0
	v_mov_b32_e32 v21, v19
	v_cmp_gt_i32_e32 vcc, 1, v10
	global_store_dwordx4 v[56:57], v[18:21], off
	s_or_b64 s[60:61], vcc, s[60:61]
	v_add_co_u32_e32 v56, vcc, v56, v44
	v_add_u32_e32 v32, v32, v1
	v_add_u32_e32 v0, v0, v34
	v_addc_co_u32_e32 v57, vcc, v57, v45, vcc
	s_andn2_b64 exec, exec, s[60:61]
	s_cbranch_execz .LBB0_63
.LBB0_59:                               ;   Parent Loop BB0_21 Depth=1
                                        ; =>  This Inner Loop Header: Depth=2
	v_and_b32_e32 v20, -4, v30
	v_mov_b32_e32 v21, v31
	global_load_dword v6, v[20:21], off glc slc
	v_min_u32_e32 v11, 8, v10
	v_and_b32_e32 v12, 3, v30
	v_add_u32_e32 v42, v12, v11
	v_cmp_lt_u32_e32 vcc, 4, v42
	v_mov_b32_e32 v11, 0
	v_mov_b32_e32 v12, 0
	s_and_saveexec_b64 s[62:63], vcc
	s_cbranch_execz .LBB0_61
; %bb.60:                               ;   in Loop: Header=BB0_59 Depth=2
	global_load_dword v12, v[20:21], off offset:4 glc slc
.LBB0_61:                               ;   in Loop: Header=BB0_59 Depth=2
	s_or_b64 exec, exec, s[62:63]
	v_cmp_lt_u64_e32 vcc, 8, v[42:43]
	s_and_saveexec_b64 s[62:63], vcc
	s_cbranch_execz .LBB0_58
; %bb.62:                               ;   in Loop: Header=BB0_59 Depth=2
	global_load_dword v11, v[20:21], off offset:8 glc slc
	s_branch .LBB0_58
.LBB0_63:                               ;   in Loop: Header=BB0_21 Depth=1
	s_or_b64 exec, exec, s[60:61]
.LBB0_64:                               ;   in Loop: Header=BB0_21 Depth=1
	s_or_b64 exec, exec, s[18:19]
	v_and_b32_e32 v42, 0x7ffffff8, v22
	v_cmp_eq_u64_e32 vcc, s[44:45], v[42:43]
	v_cmp_gt_i32_e64 s[18:19], s34, v32
	s_and_b64 s[18:19], vcc, s[18:19]
	s_and_saveexec_b64 s[60:61], s[18:19]
	s_cbranch_execz .LBB0_67
; %bb.65:                               ;   in Loop: Header=BB0_21 Depth=1
	v_mul_lo_u32 v6, v7, s34
	v_ashrrev_i32_e32 v33, 31, v32
	v_lshlrev_b64 v[10:11], 4, v[32:33]
	v_mov_b32_e32 v18, v43
	v_ashrrev_i32_e32 v7, 31, v6
	v_lshlrev_b64 v[6:7], 4, v[6:7]
	s_mov_b64 s[62:63], 0
	s_waitcnt vmcnt(0) lgkmcnt(0)
	v_add_co_u32_e32 v0, vcc, v10, v6
	v_addc_co_u32_e32 v6, vcc, v11, v7, vcc
	v_add_co_u32_e32 v30, vcc, v38, v0
	v_addc_co_u32_e32 v31, vcc, v39, v6, vcc
.LBB0_66:                               ;   Parent Loop BB0_21 Depth=1
                                        ; =>  This Inner Loop Header: Depth=2
	v_mov_b32_e32 v20, v18
	v_mov_b32_e32 v21, v19
	v_add_u32_e32 v32, v32, v1
	global_store_dwordx4 v[30:31], v[18:21], off
	v_add_co_u32_e32 v30, vcc, v30, v44
	v_cmp_le_i32_e64 s[18:19], s34, v32
	s_or_b64 s[62:63], s[18:19], s[62:63]
	v_addc_co_u32_e32 v31, vcc, v31, v45, vcc
	s_andn2_b64 exec, exec, s[62:63]
	s_cbranch_execnz .LBB0_66
.LBB0_67:                               ;   in Loop: Header=BB0_21 Depth=1
	s_or_b64 exec, exec, s[60:61]
	buffer_load_dword v6, off, s[0:3], s32 offset:132 ; 4-byte Folded Reload
	buffer_load_dword v7, off, s[0:3], s32 offset:136 ; 4-byte Folded Reload
	v_add_co_u32_e64 v56, s[18:19], 1, v22
	v_addc_co_u32_e64 v57, s[18:19], 0, v23, s[18:19]
	s_waitcnt vmcnt(0)
	v_add_co_u32_e32 v6, vcc, v50, v6
	v_addc_co_u32_e32 v7, vcc, v51, v7, vcc
	s_andn2_b64 vcc, exec, s[42:43]
	buffer_store_dword v50, off, s[0:3], s32 offset:100 ; 4-byte Folded Spill
	s_nop 0
	buffer_store_dword v51, off, s[0:3], s32 offset:104 ; 4-byte Folded Spill
	buffer_store_dword v6, off, s[0:3], s32 offset:108 ; 4-byte Folded Spill
	buffer_store_dword v7, off, s[0:3], s32 offset:112 ; 4-byte Folded Spill
	s_cbranch_vccnz .LBB0_374
; %bb.68:                               ;   in Loop: Header=BB0_21 Depth=1
	buffer_store_dword v61, off, s[0:3], s32 offset:160 ; 4-byte Folded Spill
	s_nop 0
	buffer_store_dword v62, off, s[0:3], s32 offset:164 ; 4-byte Folded Spill
	s_waitcnt lgkmcnt(0)
	buffer_load_dword v0, off, s[0:3], s32 offset:188 ; 4-byte Folded Reload
	v_add_u16_e32 v50, 1, v22
	s_mov_b32 s48, 2
	s_waitcnt vmcnt(0)
	v_add_co_u32_e32 v6, vcc, v0, v6
	buffer_load_dword v0, off, s[0:3], s32 offset:192 ; 4-byte Folded Reload
	s_waitcnt vmcnt(0)
	v_addc_co_u32_e32 v7, vcc, v0, v7, vcc
	buffer_store_dword v6, off, s[0:3], s32 offset:84 ; 4-byte Folded Spill
	s_nop 0
	buffer_store_dword v7, off, s[0:3], s32 offset:88 ; 4-byte Folded Spill
	s_branch .LBB0_70
.LBB0_69:                               ;   in Loop: Header=BB0_70 Depth=2
	s_or_b64 exec, exec, s[60:61]
	v_add_co_u32_e32 v36, vcc, 1, v36
	v_addc_co_u32_e32 v37, vcc, 0, v37, vcc
	s_add_i32 s48, s48, 1
	v_add_co_u32_e32 v56, vcc, 1, v56
	v_addc_co_u32_e32 v57, vcc, 0, v57, vcc
	s_cmp_eq_u32 s48, s20
	v_add_u16_e32 v50, 1, v50
	s_cbranch_scc1 .LBB0_373
.LBB0_70:                               ;   Parent Loop BB0_21 Depth=1
                                        ; =>  This Loop Header: Depth=2
                                        ;       Child Loop BB0_75 Depth 3
                                        ;       Child Loop BB0_94 Depth 3
	;; [unrolled: 1-line block ×3, first 2 shown]
                                        ;         Child Loop BB0_116 Depth 4
                                        ;       Child Loop BB0_356 Depth 3
                                        ;       Child Loop BB0_365 Depth 3
	s_sub_i32 s26, s20, s48
	s_lshl_b64 s[18:19], s[26:27], 2
	s_waitcnt vmcnt(0) lgkmcnt(0)
	v_mov_b32_e32 v0, s19
	v_add_co_u32_e32 v6, vcc, s18, v24
	v_addc_co_u32_e32 v7, vcc, v25, v0, vcc
	flat_load_dword v0, v[6:7]
	s_and_saveexec_b64 s[60:61], s[6:7]
	s_cbranch_execz .LBB0_86
; %bb.71:                               ;   in Loop: Header=BB0_70 Depth=2
	v_add_co_u32_e32 v18, vcc, 1, v16
	v_addc_co_u32_e32 v19, vcc, 0, v17, vcc
	v_add_co_u32_e32 v6, vcc, 8, v54
	v_addc_co_u32_e32 v7, vcc, 0, v55, vcc
	v_cmp_lt_u64_e32 vcc, v[6:7], v[18:19]
	s_and_saveexec_b64 s[62:63], vcc
	s_cbranch_execz .LBB0_83
; %bb.72:                               ;   in Loop: Header=BB0_70 Depth=2
	s_mov_b32 s26, 0
	v_cmp_eq_u32_e32 vcc, 0, v40
	s_mov_b64 s[72:73], 0
                                        ; implicit-def: $sgpr74_sgpr75
                                        ; implicit-def: $sgpr76_sgpr77
                                        ; implicit-def: $sgpr78_sgpr79
	s_branch .LBB0_75
.LBB0_73:                               ;   in Loop: Header=BB0_75 Depth=3
	s_or_b64 exec, exec, s[30:31]
	s_andn2_b64 s[18:19], s[78:79], exec
	s_and_b64 s[78:79], s[92:93], exec
	s_or_b64 s[78:79], s[18:19], s[78:79]
	s_andn2_b64 s[18:19], s[76:77], exec
	s_and_b64 s[76:77], s[90:91], exec
	v_mov_b32_e32 v10, 0
	s_or_b64 s[76:77], s[18:19], s[76:77]
.LBB0_74:                               ;   in Loop: Header=BB0_75 Depth=3
	s_or_b64 exec, exec, s[88:89]
	s_and_b64 s[18:19], exec, s[76:77]
	s_or_b64 s[72:73], s[18:19], s[72:73]
	s_andn2_b64 s[18:19], s[74:75], exec
	s_and_b64 s[74:75], s[78:79], exec
	s_or_b64 s[74:75], s[18:19], s[74:75]
	s_andn2_b64 exec, exec, s[72:73]
	s_cbranch_execz .LBB0_80
.LBB0_75:                               ;   Parent Loop BB0_21 Depth=1
                                        ;     Parent Loop BB0_70 Depth=2
                                        ; =>    This Inner Loop Header: Depth=3
	s_sleep 1
	s_waitcnt vmcnt(0) lgkmcnt(0)
	flat_load_dwordx2 v[54:55], v[52:53] glc
	s_or_b64 s[78:79], s[78:79], exec
	s_or_b64 s[76:77], s[76:77], exec
	v_mov_b32_e32 v10, v40
                                        ; implicit-def: $vgpr7
	s_and_saveexec_b64 s[88:89], vcc
	s_cbranch_execz .LBB0_74
; %bb.76:                               ;   in Loop: Header=BB0_75 Depth=3
	s_add_i32 s26, s26, 1
	s_cmpk_lg_i32 s26, 0x2710
	s_cselect_b64 s[94:95], -1, 0
	s_cmpk_eq_i32 s26, 0x2710
	s_mov_b64 s[90:91], -1
	s_mov_b64 s[92:93], -1
                                        ; implicit-def: $vgpr7
	s_cbranch_scc1 .LBB0_78
; %bb.77:                               ;   in Loop: Header=BB0_75 Depth=3
	s_and_saveexec_b64 s[30:31], s[94:95]
	s_cbranch_execz .LBB0_73
	s_branch .LBB0_79
.LBB0_78:                               ;   in Loop: Header=BB0_75 Depth=3
	s_trap 2
	s_waitcnt vmcnt(0) lgkmcnt(0)
	ds_read_b64 v[6:7], v0
	s_andn2_b64 s[94:95], s[94:95], exec
	s_mov_b32 s26, 0
	s_mov_b64 s[92:93], 0
	s_waitcnt lgkmcnt(0)
	flat_load_dword v7, v[6:7] glc
	s_waitcnt vmcnt(0) lgkmcnt(0)
	buffer_wbinvl1_vol
	v_cmp_eq_u32_e64 s[18:19], 0, v7
	s_and_b64 s[18:19], s[18:19], exec
	s_or_b64 s[94:95], s[94:95], s[18:19]
	s_and_saveexec_b64 s[30:31], s[94:95]
	s_cbranch_execz .LBB0_73
.LBB0_79:                               ;   in Loop: Header=BB0_75 Depth=3
	s_waitcnt vmcnt(0) lgkmcnt(0)
	v_add_co_u32_e64 v10, s[18:19], 8, v54
	v_addc_co_u32_e64 v11, s[18:19], 0, v55, s[18:19]
	v_cmp_ge_u64_e64 s[18:19], v[10:11], v[18:19]
	s_or_b64 s[92:93], s[92:93], exec
	s_orn2_b64 s[90:91], s[18:19], exec
	s_branch .LBB0_73
.LBB0_80:                               ;   in Loop: Header=BB0_70 Depth=2
	s_or_b64 exec, exec, s[72:73]
	s_xor_b64 s[18:19], s[74:75], -1
	s_and_saveexec_b64 s[72:73], s[18:19]
	s_xor_b64 s[18:19], exec, s[72:73]
	s_cbranch_execz .LBB0_82
; %bb.81:                               ;   in Loop: Header=BB0_70 Depth=2
	v_mov_b32_e32 v10, 1
	s_waitcnt vmcnt(0) lgkmcnt(0)
	ds_write_b32 v0, v7
	s_trap 2
.LBB0_82:                               ;   in Loop: Header=BB0_70 Depth=2
	s_or_b64 exec, exec, s[18:19]
	v_mov_b32_e32 v40, v10
.LBB0_83:                               ;   in Loop: Header=BB0_70 Depth=2
	s_or_b64 exec, exec, s[62:63]
	s_and_saveexec_b64 s[18:19], s[8:9]
	s_cbranch_execz .LBB0_85
; %bb.84:                               ;   in Loop: Header=BB0_70 Depth=2
	buffer_load_dword v11, off, s[0:3], s32 offset:92 ; 4-byte Folded Reload
	v_and_b32_e32 v42, 0x7ffffff8, v16
	v_and_b32_e32 v6, 7, v16
	v_mad_u64_u32 v[6:7], s[62:63], v6, 24, v[14:15]
	v_cmp_eq_u64_e32 vcc, s[44:45], v[42:43]
	v_mov_b32_e32 v10, s21
	s_waitcnt vmcnt(0)
	v_cndmask_b32_e32 v10, v11, v10, vcc
	v_ashrrev_i32_e32 v11, 31, v10
	flat_store_dwordx2 v[6:7], v[10:11] offset:8
	s_waitcnt vmcnt(0)
.LBB0_85:                               ;   in Loop: Header=BB0_70 Depth=2
	s_or_b64 exec, exec, s[18:19]
	v_mov_b32_e32 v16, v18
	v_mov_b32_e32 v17, v19
.LBB0_86:                               ;   in Loop: Header=BB0_70 Depth=2
	s_or_b64 exec, exec, s[60:61]
	s_and_saveexec_b64 s[18:19], s[10:11]
	s_cbranch_execz .LBB0_105
; %bb.87:                               ;   in Loop: Header=BB0_70 Depth=2
	s_and_saveexec_b64 s[60:61], s[40:41]
	s_xor_b64 s[60:61], exec, s[60:61]
	s_cbranch_execz .LBB0_102
; %bb.88:                               ;   in Loop: Header=BB0_70 Depth=2
	s_and_saveexec_b64 s[62:63], s[12:13]
	s_cbranch_execz .LBB0_101
; %bb.89:                               ;   in Loop: Header=BB0_70 Depth=2
	s_mov_b64 s[74:75], exec
	v_mbcnt_lo_u32_b32 v6, s74, 0
	v_mbcnt_hi_u32_b32 v6, s75, v6
	v_cmp_eq_u32_e32 vcc, 0, v6
	s_waitcnt vmcnt(0) lgkmcnt(0)
	buffer_wbinvl1_vol
	s_and_saveexec_b64 s[72:73], vcc
	s_cbranch_execz .LBB0_91
; %bb.90:                               ;   in Loop: Header=BB0_70 Depth=2
	s_bcnt1_i32_b64 s26, s[74:75]
	v_mov_b32_e32 v42, s26
	ds_add_u64 v0, v[42:43]
	s_trap 2
.LBB0_91:                               ;   in Loop: Header=BB0_70 Depth=2
	s_or_b64 exec, exec, s[72:73]
	s_trap 2
	ds_read_b64 v[6:7], v0
	s_waitcnt lgkmcnt(0)
	buffer_load_dword v10, off, s[0:3], s32 offset:96 ; 4-byte Folded Reload
	s_waitcnt vmcnt(0)
	v_add_co_u32_e32 v2, vcc, v2, v10
	v_addc_co_u32_e32 v3, vcc, 0, v3, vcc
	v_cmp_lt_u64_e32 vcc, v[6:7], v[2:3]
	s_and_saveexec_b64 s[72:73], vcc
	s_cbranch_execz .LBB0_100
; %bb.92:                               ;   in Loop: Header=BB0_70 Depth=2
	s_mov_b32 s26, 0
	s_mov_b64 s[74:75], 0
                                        ; implicit-def: $sgpr76_sgpr77
                                        ; implicit-def: $sgpr78_sgpr79
	s_branch .LBB0_94
.LBB0_93:                               ;   in Loop: Header=BB0_94 Depth=3
	s_or_b64 exec, exec, s[90:91]
	s_and_b64 s[88:89], exec, s[92:93]
	s_or_b64 s[74:75], s[88:89], s[74:75]
	s_andn2_b64 s[76:77], s[76:77], exec
	s_and_b64 s[88:89], s[78:79], exec
	s_or_b64 s[76:77], s[76:77], s[88:89]
	s_andn2_b64 exec, exec, s[74:75]
	s_cbranch_execz .LBB0_98
.LBB0_94:                               ;   Parent Loop BB0_21 Depth=1
                                        ;     Parent Loop BB0_70 Depth=2
                                        ; =>    This Inner Loop Header: Depth=3
	s_add_i32 s26, s26, 1
	s_cmpk_lg_i32 s26, 0x2710
	s_cselect_b64 s[88:89], -1, 0
	s_and_b64 vcc, exec, s[88:89]
	s_cbranch_vccz .LBB0_96
; %bb.95:                               ;   in Loop: Header=BB0_94 Depth=3
	s_mov_b64 s[92:93], -1
	s_or_b64 s[78:79], s[78:79], exec
	s_and_saveexec_b64 s[90:91], s[88:89]
	s_cbranch_execz .LBB0_93
	s_branch .LBB0_97
.LBB0_96:                               ;   in Loop: Header=BB0_94 Depth=3
	s_trap 2
	ds_read_b64 v[6:7], v0
	s_andn2_b64 s[88:89], s[88:89], exec
	s_mov_b32 s26, 0
	s_waitcnt lgkmcnt(0)
	flat_load_dword v6, v[6:7] glc
	s_waitcnt vmcnt(0) lgkmcnt(0)
	buffer_wbinvl1_vol
	v_cmp_eq_u32_e32 vcc, 0, v6
	s_and_b64 s[90:91], vcc, exec
	s_or_b64 s[88:89], s[88:89], s[90:91]
	s_mov_b64 s[92:93], -1
	s_or_b64 s[78:79], s[78:79], exec
	s_and_saveexec_b64 s[90:91], s[88:89]
	s_cbranch_execz .LBB0_93
.LBB0_97:                               ;   in Loop: Header=BB0_94 Depth=3
	s_sleep 1
	s_trap 2
	ds_read_b64 v[6:7], v0
	s_waitcnt lgkmcnt(0)
	s_andn2_b64 s[78:79], s[78:79], exec
	v_cmp_ge_u64_e32 vcc, v[6:7], v[2:3]
	s_orn2_b64 s[92:93], vcc, exec
	s_branch .LBB0_93
.LBB0_98:                               ;   in Loop: Header=BB0_70 Depth=2
	s_or_b64 exec, exec, s[74:75]
	s_and_saveexec_b64 s[74:75], s[76:77]
	s_xor_b64 s[74:75], exec, s[74:75]
	s_cbranch_execz .LBB0_100
; %bb.99:                               ;   in Loop: Header=BB0_70 Depth=2
	v_mov_b32_e32 v6, 1
	ds_write_b32 v0, v6
	s_trap 2
.LBB0_100:                              ;   in Loop: Header=BB0_70 Depth=2
	s_or_b64 exec, exec, s[72:73]
	;;#ASMSTART
	s_wakeup
	;;#ASMEND
.LBB0_101:                              ;   in Loop: Header=BB0_70 Depth=2
	s_or_b64 exec, exec, s[62:63]
.LBB0_102:                              ;   in Loop: Header=BB0_70 Depth=2
	s_andn2_saveexec_b64 s[60:61], s[60:61]
	s_cbranch_execz .LBB0_104
; %bb.103:                              ;   in Loop: Header=BB0_70 Depth=2
	s_waitcnt vmcnt(0) lgkmcnt(0)
	buffer_wbinvl1_vol
	s_barrier
.LBB0_104:                              ;   in Loop: Header=BB0_70 Depth=2
	s_or_b64 exec, exec, s[60:61]
.LBB0_105:                              ;   in Loop: Header=BB0_70 Depth=2
	s_or_b64 exec, exec, s[18:19]
	v_add_u32_e32 v19, 1, v56
	v_mov_b32_e32 v60, v4
	s_and_saveexec_b64 s[60:61], s[16:17]
	s_cbranch_execz .LBB0_348
; %bb.106:                              ;   in Loop: Header=BB0_70 Depth=2
	buffer_load_dword v7, off, s[0:3], s32 offset:60 ; 4-byte Folded Reload
	buffer_load_dword v10, off, s[0:3], s32 offset:84 ; 4-byte Folded Reload
	;; [unrolled: 1-line block ×3, first 2 shown]
	s_waitcnt vmcnt(0) lgkmcnt(0)
	v_ashrrev_i32_e32 v6, 31, v0
	s_mov_b64 s[62:63], 0
	v_mov_b32_e32 v41, v26
	v_mov_b32_e32 v60, v4
	v_mad_u64_u32 v[32:33], s[18:19], v7, v0, v[10:11]
	buffer_load_dword v10, off, s[0:3], s32 offset:64 ; 4-byte Folded Reload
	buffer_load_dword v11, off, s[0:3], s32 offset:76 ; 4-byte Folded Reload
	;; [unrolled: 1-line block ×3, first 2 shown]
	v_mul_lo_u32 v7, v7, v6
	v_and_b32_e32 v6, 7, v36
	v_mul_lo_u32 v6, v6, s34
	s_waitcnt vmcnt(2)
	v_mul_lo_u32 v0, v10, v0
	v_add3_u32 v33, v0, v33, v7
	v_and_b32_e32 v0, 7, v56
	v_mul_lo_u32 v10, v0, s34
	v_ashrrev_i32_e32 v7, 31, v6
	v_lshlrev_b64 v[6:7], 4, v[6:7]
	s_waitcnt vmcnt(1)
	v_add_co_u32_e32 v51, vcc, v11, v6
	v_ashrrev_i32_e32 v11, 31, v10
	v_lshlrev_b64 v[10:11], 4, v[10:11]
	s_waitcnt vmcnt(0)
	v_addc_co_u32_e32 v7, vcc, v12, v7, vcc
	v_add_co_u32_e32 v10, vcc, v38, v10
	v_add_u32_e32 v12, 1, v36
	v_addc_co_u32_e32 v11, vcc, v39, v11, vcc
	s_branch .LBB0_108
.LBB0_107:                              ;   in Loop: Header=BB0_108 Depth=3
	s_or_b64 exec, exec, s[18:19]
	v_add_co_u32_e32 v32, vcc, v32, v13
	v_addc_co_u32_e32 v33, vcc, 0, v33, vcc
	v_lshlrev_b32_e32 v0, 8, v34
	v_lshlrev_b32_e32 v6, 16, v30
	v_or3_b32 v0, v0, v18, v6
	v_lshlrev_b32_e32 v18, 8, v35
	v_lshlrev_b32_e32 v21, 16, v28
	v_add_co_u32_e32 v22, vcc, v10, v61
	v_or3_b32 v21, v18, v23, v21
	v_addc_co_u32_e32 v23, vcc, v11, v62, vcc
	v_sub_u32_e32 v41, v41, v13
	v_lshlrev_b32_e32 v6, 24, v31
	v_lshlrev_b32_e32 v20, 24, v20
	v_cmp_gt_i32_e32 vcc, 1, v41
	v_or3_b32 v18, v0, v6, 0
	v_or3_b32 v20, v21, v20, 0
	v_mov_b32_e32 v21, v19
	s_or_b64 s[62:63], vcc, s[62:63]
	v_add_u32_e32 v60, v60, v1
	global_store_dwordx4 v[22:23], v[18:21], off
	s_andn2_b64 exec, exec, s[62:63]
	s_cbranch_execz .LBB0_360
.LBB0_108:                              ;   Parent Loop BB0_21 Depth=1
                                        ;     Parent Loop BB0_70 Depth=2
                                        ; =>    This Loop Header: Depth=3
                                        ;         Child Loop BB0_116 Depth 4
	v_and_b32_e32 v20, -4, v32
	v_mov_b32_e32 v21, v33
	global_load_dword v0, v[20:21], off glc slc
	v_min_u32_e32 v6, 8, v41
	v_and_b32_e32 v18, 3, v32
	v_add_u32_e32 v42, v18, v6
	v_cmp_lt_u32_e32 vcc, 4, v42
	v_mov_b32_e32 v35, 0
	v_mov_b32_e32 v46, 0
	s_and_saveexec_b64 s[18:19], vcc
	s_cbranch_execz .LBB0_110
; %bb.109:                              ;   in Loop: Header=BB0_108 Depth=3
	global_load_dword v46, v[20:21], off offset:4 glc slc
.LBB0_110:                              ;   in Loop: Header=BB0_108 Depth=3
	s_or_b64 exec, exec, s[18:19]
	v_cmp_lt_u64_e32 vcc, 8, v[42:43]
	s_and_saveexec_b64 s[18:19], vcc
	s_cbranch_execz .LBB0_112
; %bb.111:                              ;   in Loop: Header=BB0_108 Depth=3
	global_load_dword v35, v[20:21], off offset:8 glc slc
.LBB0_112:                              ;   in Loop: Header=BB0_108 Depth=3
	s_or_b64 exec, exec, s[18:19]
	v_ashrrev_i32_e32 v61, 31, v60
	v_lshlrev_b64 v[61:62], 4, v[60:61]
	v_add_co_u32_e32 v30, vcc, v51, v61
	v_addc_co_u32_e32 v31, vcc, v7, v62, vcc
	global_load_dwordx4 v[20:23], v[30:31], off glc slc
	v_cmp_eq_u32_e32 vcc, 0, v40
	s_and_saveexec_b64 s[72:73], vcc
	s_cbranch_execz .LBB0_124
; %bb.113:                              ;   in Loop: Header=BB0_108 Depth=3
	s_waitcnt vmcnt(0)
	v_cmp_ne_u32_e32 vcc, v12, v21
	v_cmp_ne_u32_e64 s[18:19], v12, v23
	s_or_b64 s[18:19], vcc, s[18:19]
	v_mov_b32_e32 v40, 0
	s_and_saveexec_b64 s[74:75], s[18:19]
	s_cbranch_execz .LBB0_123
; %bb.114:                              ;   in Loop: Header=BB0_108 Depth=3
	s_mov_b32 s26, 1
	s_mov_b64 s[78:79], 0
                                        ; implicit-def: $sgpr76_sgpr77
                                        ; implicit-def: $sgpr88_sgpr89
	s_branch .LBB0_116
.LBB0_115:                              ;   in Loop: Header=BB0_116 Depth=4
	s_or_b64 exec, exec, s[92:93]
	s_and_b64 s[18:19], exec, s[18:19]
	s_or_b64 s[78:79], s[18:19], s[78:79]
	s_andn2_b64 s[18:19], s[76:77], exec
	s_and_b64 s[76:77], s[88:89], exec
	s_or_b64 s[76:77], s[18:19], s[76:77]
	s_andn2_b64 exec, exec, s[78:79]
	s_cbranch_execz .LBB0_120
.LBB0_116:                              ;   Parent Loop BB0_21 Depth=1
                                        ;     Parent Loop BB0_70 Depth=2
                                        ;       Parent Loop BB0_108 Depth=3
                                        ; =>      This Inner Loop Header: Depth=4
	global_load_dwordx4 v[20:23], v[30:31], off glc slc
	s_add_i32 s26, s26, 1
	s_mov_b64 s[18:19], -1
	s_cmpk_lg_i32 s26, 0x2710
	s_mov_b64 s[90:91], -1
                                        ; implicit-def: $vgpr18
	s_cbranch_scc0 .LBB0_118
; %bb.117:                              ;   in Loop: Header=BB0_116 Depth=4
	s_or_b64 s[88:89], s[88:89], exec
	s_and_saveexec_b64 s[92:93], s[90:91]
	s_cbranch_execz .LBB0_115
	s_branch .LBB0_119
.LBB0_118:                              ;   in Loop: Header=BB0_116 Depth=4
	s_trap 2
	ds_read_b64 v[28:29], v0
	s_mov_b32 s26, 0
	s_waitcnt vmcnt(0) lgkmcnt(0)
	flat_load_dword v18, v[28:29] glc
	s_waitcnt vmcnt(0) lgkmcnt(0)
	buffer_wbinvl1_vol
	v_cmp_eq_u32_e32 vcc, 0, v18
	s_orn2_b64 s[90:91], vcc, exec
	s_or_b64 s[88:89], s[88:89], exec
	s_and_saveexec_b64 s[92:93], s[90:91]
	s_cbranch_execz .LBB0_115
.LBB0_119:                              ;   in Loop: Header=BB0_116 Depth=4
	s_waitcnt vmcnt(0)
	v_cmp_eq_u32_e32 vcc, v12, v21
	v_cmp_eq_u32_e64 s[18:19], v12, v23
	s_and_b64 s[18:19], vcc, s[18:19]
	s_andn2_b64 s[88:89], s[88:89], exec
	s_orn2_b64 s[18:19], s[18:19], exec
	s_branch .LBB0_115
.LBB0_120:                              ;   in Loop: Header=BB0_108 Depth=3
	s_or_b64 exec, exec, s[78:79]
	v_mov_b32_e32 v40, 0
	s_and_saveexec_b64 s[18:19], s[76:77]
	s_xor_b64 s[18:19], exec, s[18:19]
	s_cbranch_execz .LBB0_122
; %bb.121:                              ;   in Loop: Header=BB0_108 Depth=3
	v_mov_b32_e32 v40, 1
	ds_write_b32 v0, v18
	s_trap 2
.LBB0_122:                              ;   in Loop: Header=BB0_108 Depth=3
	s_or_b64 exec, exec, s[18:19]
.LBB0_123:                              ;   in Loop: Header=BB0_108 Depth=3
	s_or_b64 exec, exec, s[74:75]
.LBB0_124:                              ;   in Loop: Header=BB0_108 Depth=3
	s_or_b64 exec, exec, s[72:73]
	s_waitcnt vmcnt(0)
	v_cmp_ne_u16_sdwa s[72:73], v20, v43 src0_sel:BYTE_0 src1_sel:DWORD
	v_mov_b32_e32 v18, 0
	v_mov_b32_e32 v28, 0
	s_and_saveexec_b64 s[18:19], s[72:73]
	s_cbranch_execz .LBB0_130
; %bb.125:                              ;   in Loop: Header=BB0_108 Depth=3
	v_cmp_ne_u16_sdwa s[74:75], v20, s36 src0_sel:BYTE_0 src1_sel:DWORD
	v_bfrev_b32_e32 v28, 1
	s_and_saveexec_b64 s[72:73], s[74:75]
	s_cbranch_execz .LBB0_129
; %bb.126:                              ;   in Loop: Header=BB0_108 Depth=3
	v_and_b32_e32 v6, 0x7f, v20
	v_cmp_ne_u32_e32 vcc, s37, v6
	v_mov_b32_e32 v28, 0x7f800001
	s_and_saveexec_b64 s[74:75], vcc
	s_cbranch_execz .LBB0_128
; %bb.127:                              ;   in Loop: Header=BB0_108 Depth=3
	v_and_b32_e32 v28, 7, v20
	v_lshrrev_b32_e32 v29, 3, v6
	v_cmp_gt_u32_e32 vcc, 8, v6
	v_ffbh_u32_e32 v6, v28
	v_min_u32_e32 v6, 32, v6
	v_subrev_u32_e32 v28, 28, v6
	v_sub_u32_e32 v6, 29, v6
	v_cndmask_b32_e32 v28, 0, v28, vcc
	v_cndmask_b32_e32 v6, v29, v6, vcc
	v_lshlrev_b64 v[28:29], v28, v[20:21]
	v_lshl_add_u32 v6, v6, 23, v27
	v_lshlrev_b32_e32 v21, 20, v28
	v_lshlrev_b32_e32 v28, 24, v20
	v_and_b32_e32 v21, 0x700000, v21
	v_and_b32_e32 v28, 0x80000000, v28
	v_or3_b32 v28, v28, v6, v21
.LBB0_128:                              ;   in Loop: Header=BB0_108 Depth=3
	s_or_b64 exec, exec, s[74:75]
.LBB0_129:                              ;   in Loop: Header=BB0_108 Depth=3
	s_or_b64 exec, exec, s[72:73]
.LBB0_130:                              ;   in Loop: Header=BB0_108 Depth=3
	s_or_b64 exec, exec, s[18:19]
	v_lshlrev_b32_e32 v47, 3, v32
	v_alignbit_b32 v42, v46, v0, v47
	v_cmp_ne_u16_sdwa s[72:73], v42, v43 src0_sel:BYTE_0 src1_sel:DWORD
	s_and_saveexec_b64 s[18:19], s[72:73]
	s_cbranch_execz .LBB0_136
; %bb.131:                              ;   in Loop: Header=BB0_108 Depth=3
	v_cmp_ne_u16_sdwa s[74:75], v42, s36 src0_sel:BYTE_0 src1_sel:DWORD
	v_bfrev_b32_e32 v18, 1
	s_and_saveexec_b64 s[72:73], s[74:75]
	s_cbranch_execz .LBB0_135
; %bb.132:                              ;   in Loop: Header=BB0_108 Depth=3
	v_and_b32_e32 v0, 0x7f, v42
	v_cmp_ne_u32_e32 vcc, s37, v0
	v_mov_b32_e32 v18, 0x7f800001
	s_and_saveexec_b64 s[74:75], vcc
	s_cbranch_execz .LBB0_134
; %bb.133:                              ;   in Loop: Header=BB0_108 Depth=3
	v_and_b32_e32 v6, 7, v42
	v_lshrrev_b32_e32 v18, 3, v0
	v_cmp_gt_u32_e32 vcc, 8, v0
	v_ffbh_u32_e32 v0, v6
	v_min_u32_e32 v0, 32, v0
	v_subrev_u32_e32 v6, 28, v0
	v_cndmask_b32_e32 v6, 0, v6, vcc
	v_lshlrev_b64 v[29:30], v6, v[42:43]
	v_sub_u32_e32 v0, 29, v0
	v_cndmask_b32_e32 v0, v18, v0, vcc
	v_lshlrev_b32_e32 v6, 20, v29
	v_lshlrev_b32_e32 v18, 24, v42
	v_and_b32_e32 v6, 0x700000, v6
	v_and_b32_e32 v18, 0x80000000, v18
	v_lshl_add_u32 v0, v0, 23, v27
	v_or3_b32 v18, v18, v0, v6
.LBB0_134:                              ;   in Loop: Header=BB0_108 Depth=3
	s_or_b64 exec, exec, s[74:75]
.LBB0_135:                              ;   in Loop: Header=BB0_108 Depth=3
	s_or_b64 exec, exec, s[72:73]
.LBB0_136:                              ;   in Loop: Header=BB0_108 Depth=3
	s_or_b64 exec, exec, s[18:19]
	v_mul_f32_e32 v21, v28, v18
	v_and_b32_e32 v28, 0x7f800000, v21
	v_mov_b32_e32 v29, v43
	v_cmp_ne_u64_e32 vcc, s[46:47], v[28:29]
                                        ; implicit-def: $vgpr18
	s_and_saveexec_b64 s[18:19], vcc
	s_xor_b64 s[72:73], exec, s[18:19]
	s_cbranch_execz .LBB0_150
; %bb.137:                              ;   in Loop: Header=BB0_108 Depth=3
	v_and_b32_e32 v28, 0x7fffffff, v21
	v_mov_b32_e32 v29, v43
	v_cmp_gt_u64_e32 vcc, s[56:57], v[28:29]
	v_and_b32_sdwa v0, v21, s36 dst_sel:DWORD dst_unused:UNUSED_PAD src0_sel:BYTE_3 src1_sel:DWORD
                                        ; implicit-def: $vgpr18
	s_and_saveexec_b64 s[18:19], vcc
	s_xor_b64 s[74:75], exec, s[18:19]
	s_cbranch_execz .LBB0_147
; %bb.138:                              ;   in Loop: Header=BB0_108 Depth=3
	v_mov_b32_e32 v18, 0
	v_cmp_ne_u32_e32 vcc, 0, v21
	s_and_saveexec_b64 s[76:77], vcc
	s_cbranch_execz .LBB0_146
; %bb.139:                              ;   in Loop: Header=BB0_108 Depth=3
	v_bfe_u32 v18, v21, 23, 8
	v_and_b32_e32 v6, 0x7fffff, v21
	v_cmp_gt_u32_e64 s[18:19], s38, v18
	v_sub_u32_e32 v21, 0x79, v18
	v_cmp_eq_u32_e32 vcc, 0, v18
	v_cndmask_b32_e64 v21, 0, v21, s[18:19]
	v_or_b32_e32 v28, 0x800000, v6
	v_cndmask_b32_e32 v21, v21, v5, vcc
	v_cndmask_b32_e32 v28, v28, v6, vcc
	v_add_u32_e32 v6, 20, v21
	v_lshlrev_b64 v[30:31], v6, -1
	v_add_u32_e32 v6, 19, v21
	v_lshlrev_b64 v[58:59], v6, 1
	v_mov_b32_e32 v29, v43
	v_bfi_b32 v31, v31, 0, 0
	v_bfi_b32 v30, v30, 0, v28
	v_cmp_eq_u64_e64 s[18:19], v[30:31], v[58:59]
	v_lshrrev_b64 v[30:31], v21, v[28:29]
	v_mov_b32_e32 v28, v30
	v_mov_b32_e32 v29, v31
	s_and_saveexec_b64 s[78:79], s[18:19]
; %bb.140:                              ;   in Loop: Header=BB0_108 Depth=3
	v_bfe_u32 v6, v30, 20, 1
	v_add_co_u32_e64 v6, s[18:19], v30, v6
	v_add_co_u32_e64 v28, s[18:19], -1, v6
; %bb.141:                              ;   in Loop: Header=BB0_108 Depth=3
	s_or_b64 exec, exec, s[78:79]
	v_add_u32_e32 v6, 0xffffff81, v18
	v_cndmask_b32_e32 v6, v6, v8, vcc
	v_lshrrev_b32_e32 v18, 23, v30
	v_add3_u32 v21, v21, v6, v18
	v_add_u32_e32 v6, 6, v21
	v_and_b32_e32 v18, 0xfffff, v28
	v_add_u32_e32 v30, v18, v30
	v_mov_b32_e32 v31, v43
	v_cmp_ne_u32_e32 vcc, 0, v6
                                        ; implicit-def: $vgpr18
	s_and_saveexec_b64 s[18:19], vcc
	s_xor_b64 s[18:19], exec, s[18:19]
; %bb.142:                              ;   in Loop: Header=BB0_108 Depth=3
	v_cmp_lt_u64_e32 vcc, s[58:59], v[30:31]
	v_add_u32_e32 v18, 7, v21
	v_cndmask_b32_e32 v18, v6, v18, vcc
	v_cndmask_b32_e64 v6, 0, 1, vcc
	v_lshrrev_b64 v[30:31], v6, v[30:31]
; %bb.143:                              ;   in Loop: Header=BB0_108 Depth=3
	s_andn2_saveexec_b64 s[18:19], s[18:19]
; %bb.144:                              ;   in Loop: Header=BB0_108 Depth=3
	v_bfe_u32 v18, v30, 23, 1
; %bb.145:                              ;   in Loop: Header=BB0_108 Depth=3
	s_or_b64 exec, exec, s[18:19]
	v_lshrrev_b64 v[28:29], 20, v[30:31]
	v_cmp_gt_i32_e32 vcc, 16, v18
	v_cndmask_b32_e32 v29, 0, v29, vcc
	v_cndmask_b32_e32 v28, 7, v28, vcc
	v_min_i32_e32 v6, 15, v18
	v_cmp_eq_u64_e64 s[18:19], 0, v[28:29]
	v_lshlrev_b32_e32 v6, 3, v6
	v_cmp_eq_u32_e32 vcc, 0, v18
	v_and_b32_e32 v6, 0xf8, v6
	v_and_or_b32 v6, v28, 7, v6
	s_and_b64 s[18:19], vcc, s[18:19]
	v_cndmask_b32_e64 v6, v6, 0, s[18:19]
	v_or_b32_e32 v18, v6, v0
.LBB0_146:                              ;   in Loop: Header=BB0_108 Depth=3
	s_or_b64 exec, exec, s[76:77]
                                        ; implicit-def: $vgpr0
.LBB0_147:                              ;   in Loop: Header=BB0_108 Depth=3
	s_andn2_saveexec_b64 s[18:19], s[74:75]
; %bb.148:                              ;   in Loop: Header=BB0_108 Depth=3
	v_or_b32_e32 v18, 0x7e, v0
; %bb.149:                              ;   in Loop: Header=BB0_108 Depth=3
	s_or_b64 exec, exec, s[18:19]
                                        ; implicit-def: $vgpr21
.LBB0_150:                              ;   in Loop: Header=BB0_108 Depth=3
	s_andn2_saveexec_b64 s[18:19], s[72:73]
; %bb.151:                              ;   in Loop: Header=BB0_108 Depth=3
	v_or_b32_sdwa v18, v21, s37 dst_sel:DWORD dst_unused:UNUSED_PAD src0_sel:BYTE_3 src1_sel:DWORD
; %bb.152:                              ;   in Loop: Header=BB0_108 Depth=3
	s_or_b64 exec, exec, s[18:19]
	v_lshrrev_b16_e32 v0, 8, v20
	v_cmp_ne_u16_e32 vcc, 0, v0
	v_mov_b32_e32 v21, 0
	v_mov_b32_e32 v28, 0
	s_and_saveexec_b64 s[18:19], vcc
	s_cbranch_execz .LBB0_158
; %bb.153:                              ;   in Loop: Header=BB0_108 Depth=3
	v_cmp_ne_u16_e32 vcc, s36, v0
	v_bfrev_b32_e32 v28, 1
	s_and_saveexec_b64 s[72:73], vcc
	s_cbranch_execz .LBB0_157
; %bb.154:                              ;   in Loop: Header=BB0_108 Depth=3
	v_and_b32_e32 v6, 0x7f, v0
	v_cmp_ne_u32_e32 vcc, s37, v6
	v_mov_b32_e32 v28, 0x7f800001
	s_and_saveexec_b64 s[74:75], vcc
	s_cbranch_execz .LBB0_156
; %bb.155:                              ;   in Loop: Header=BB0_108 Depth=3
	v_and_b32_e32 v30, 7, v0
	v_lshrrev_b32_e32 v31, 3, v6
	v_cmp_gt_u32_e32 vcc, 8, v6
	v_ffbh_u32_e32 v6, v30
	v_min_u32_e32 v6, 32, v6
	v_subrev_u32_e32 v28, 28, v6
	v_lshlrev_b64 v[28:29], v28, v[0:1]
	v_sub_u32_e32 v0, 29, v6
	v_and_b32_e32 v6, 7, v28
	v_cndmask_b32_e32 v0, v31, v0, vcc
	v_cndmask_b32_e32 v6, v30, v6, vcc
	v_lshlrev_b32_e32 v28, 16, v20
	v_lshlrev_b32_e32 v6, 20, v6
	v_and_b32_e32 v28, 0x80000000, v28
	v_lshl_add_u32 v0, v0, 23, v27
	v_or3_b32 v28, v28, v0, v6
.LBB0_156:                              ;   in Loop: Header=BB0_108 Depth=3
	s_or_b64 exec, exec, s[74:75]
.LBB0_157:                              ;   in Loop: Header=BB0_108 Depth=3
	s_or_b64 exec, exec, s[72:73]
.LBB0_158:                              ;   in Loop: Header=BB0_108 Depth=3
	s_or_b64 exec, exec, s[18:19]
	v_lshrrev_b16_e32 v0, 8, v42
	v_cmp_ne_u16_e32 vcc, 0, v0
	s_and_saveexec_b64 s[18:19], vcc
	s_cbranch_execz .LBB0_164
; %bb.159:                              ;   in Loop: Header=BB0_108 Depth=3
	v_cmp_ne_u16_e32 vcc, s36, v0
	v_bfrev_b32_e32 v21, 1
	s_and_saveexec_b64 s[72:73], vcc
	s_cbranch_execz .LBB0_163
; %bb.160:                              ;   in Loop: Header=BB0_108 Depth=3
	v_and_b32_e32 v6, 0x7f, v0
	v_cmp_ne_u32_e32 vcc, s37, v6
	v_mov_b32_e32 v21, 0x7f800001
	s_and_saveexec_b64 s[74:75], vcc
	s_cbranch_execz .LBB0_162
; %bb.161:                              ;   in Loop: Header=BB0_108 Depth=3
	v_and_b32_e32 v21, 7, v0
	v_lshrrev_b32_e32 v31, 3, v6
	v_cmp_gt_u32_e32 vcc, 8, v6
	v_ffbh_u32_e32 v6, v21
	v_min_u32_e32 v6, 32, v6
	v_subrev_u32_e32 v29, 28, v6
	v_lshlrev_b64 v[29:30], v29, v[0:1]
	v_sub_u32_e32 v0, 29, v6
	v_and_b32_e32 v6, 7, v29
	v_cndmask_b32_e32 v0, v31, v0, vcc
	v_cndmask_b32_e32 v6, v21, v6, vcc
	v_lshlrev_b32_e32 v21, 16, v42
	v_lshlrev_b32_e32 v6, 20, v6
	v_and_b32_e32 v21, 0x80000000, v21
	v_lshl_add_u32 v0, v0, 23, v27
	v_or3_b32 v21, v21, v0, v6
.LBB0_162:                              ;   in Loop: Header=BB0_108 Depth=3
	s_or_b64 exec, exec, s[74:75]
.LBB0_163:                              ;   in Loop: Header=BB0_108 Depth=3
	s_or_b64 exec, exec, s[72:73]
.LBB0_164:                              ;   in Loop: Header=BB0_108 Depth=3
	s_or_b64 exec, exec, s[18:19]
	v_mul_f32_e32 v21, v28, v21
	v_and_b32_e32 v28, 0x7f800000, v21
	v_mov_b32_e32 v29, v43
	v_cmp_ne_u64_e32 vcc, s[46:47], v[28:29]
                                        ; implicit-def: $vgpr34
	s_and_saveexec_b64 s[18:19], vcc
	s_xor_b64 s[72:73], exec, s[18:19]
	s_cbranch_execz .LBB0_178
; %bb.165:                              ;   in Loop: Header=BB0_108 Depth=3
	v_and_b32_e32 v28, 0x7fffffff, v21
	v_mov_b32_e32 v29, v43
	v_cmp_gt_u64_e32 vcc, s[56:57], v[28:29]
	v_and_b32_sdwa v0, v21, s36 dst_sel:DWORD dst_unused:UNUSED_PAD src0_sel:BYTE_3 src1_sel:DWORD
                                        ; implicit-def: $vgpr34
	s_and_saveexec_b64 s[18:19], vcc
	s_xor_b64 s[74:75], exec, s[18:19]
	s_cbranch_execz .LBB0_175
; %bb.166:                              ;   in Loop: Header=BB0_108 Depth=3
	v_mov_b32_e32 v34, 0
	v_cmp_ne_u32_e32 vcc, 0, v21
	s_and_saveexec_b64 s[76:77], vcc
	s_cbranch_execz .LBB0_174
; %bb.167:                              ;   in Loop: Header=BB0_108 Depth=3
	v_and_b32_e32 v6, 0x7fffff, v21
	v_bfe_u32 v21, v21, 23, 8
	v_cmp_gt_u32_e64 s[18:19], s38, v21
	v_sub_u32_e32 v28, 0x79, v21
	v_cmp_eq_u32_e32 vcc, 0, v21
	v_cndmask_b32_e64 v28, 0, v28, s[18:19]
	v_or_b32_e32 v29, 0x800000, v6
	v_cndmask_b32_e32 v34, v28, v5, vcc
	v_cndmask_b32_e32 v28, v29, v6, vcc
	v_add_u32_e32 v6, 20, v34
	v_lshlrev_b64 v[30:31], v6, -1
	v_add_u32_e32 v6, 19, v34
	v_lshlrev_b64 v[58:59], v6, 1
	v_mov_b32_e32 v29, v43
	v_bfi_b32 v31, v31, 0, 0
	v_bfi_b32 v30, v30, 0, v28
	v_cmp_eq_u64_e64 s[18:19], v[30:31], v[58:59]
	v_lshrrev_b64 v[30:31], v34, v[28:29]
	v_mov_b32_e32 v28, v30
	v_mov_b32_e32 v29, v31
	s_and_saveexec_b64 s[78:79], s[18:19]
; %bb.168:                              ;   in Loop: Header=BB0_108 Depth=3
	v_bfe_u32 v6, v30, 20, 1
	v_add_co_u32_e64 v6, s[18:19], v30, v6
	v_add_co_u32_e64 v28, s[18:19], -1, v6
; %bb.169:                              ;   in Loop: Header=BB0_108 Depth=3
	s_or_b64 exec, exec, s[78:79]
	v_add_u32_e32 v6, 0xffffff81, v21
	v_cndmask_b32_e32 v6, v6, v8, vcc
	v_lshrrev_b32_e32 v21, 23, v30
	v_add3_u32 v29, v34, v6, v21
	v_add_u32_e32 v6, 6, v29
	v_and_b32_e32 v21, 0xfffff, v28
	v_add_u32_e32 v30, v21, v30
	v_mov_b32_e32 v31, v43
	v_cmp_ne_u32_e32 vcc, 0, v6
                                        ; implicit-def: $vgpr21
	s_and_saveexec_b64 s[18:19], vcc
	s_xor_b64 s[18:19], exec, s[18:19]
; %bb.170:                              ;   in Loop: Header=BB0_108 Depth=3
	v_cmp_lt_u64_e32 vcc, s[58:59], v[30:31]
	v_add_u32_e32 v21, 7, v29
	v_cndmask_b32_e32 v21, v6, v21, vcc
	v_cndmask_b32_e64 v6, 0, 1, vcc
	v_lshrrev_b64 v[30:31], v6, v[30:31]
; %bb.171:                              ;   in Loop: Header=BB0_108 Depth=3
	s_andn2_saveexec_b64 s[18:19], s[18:19]
; %bb.172:                              ;   in Loop: Header=BB0_108 Depth=3
	v_bfe_u32 v21, v30, 23, 1
; %bb.173:                              ;   in Loop: Header=BB0_108 Depth=3
	s_or_b64 exec, exec, s[18:19]
	v_lshrrev_b64 v[28:29], 20, v[30:31]
	v_cmp_gt_i32_e32 vcc, 16, v21
	v_cndmask_b32_e32 v29, 0, v29, vcc
	v_cndmask_b32_e32 v28, 7, v28, vcc
	v_min_i32_e32 v6, 15, v21
	v_cmp_eq_u64_e64 s[18:19], 0, v[28:29]
	v_lshlrev_b32_e32 v6, 3, v6
	v_cmp_eq_u32_e32 vcc, 0, v21
	v_and_b32_e32 v6, 0xf8, v6
	v_and_or_b32 v6, v28, 7, v6
	s_and_b64 s[18:19], vcc, s[18:19]
	v_cndmask_b32_e64 v6, v6, 0, s[18:19]
	v_or_b32_e32 v34, v6, v0
.LBB0_174:                              ;   in Loop: Header=BB0_108 Depth=3
	s_or_b64 exec, exec, s[76:77]
                                        ; implicit-def: $vgpr0
.LBB0_175:                              ;   in Loop: Header=BB0_108 Depth=3
	s_andn2_saveexec_b64 s[18:19], s[74:75]
; %bb.176:                              ;   in Loop: Header=BB0_108 Depth=3
	v_or_b32_e32 v34, 0x7e, v0
; %bb.177:                              ;   in Loop: Header=BB0_108 Depth=3
	s_or_b64 exec, exec, s[18:19]
                                        ; implicit-def: $vgpr21
.LBB0_178:                              ;   in Loop: Header=BB0_108 Depth=3
	s_andn2_saveexec_b64 s[18:19], s[72:73]
; %bb.179:                              ;   in Loop: Header=BB0_108 Depth=3
	v_or_b32_sdwa v34, v21, s37 dst_sel:DWORD dst_unused:UNUSED_PAD src0_sel:BYTE_3 src1_sel:DWORD
; %bb.180:                              ;   in Loop: Header=BB0_108 Depth=3
	s_or_b64 exec, exec, s[18:19]
	v_lshrrev_b32_e32 v0, 16, v20
	v_cmp_ne_u16_sdwa s[72:73], v0, v43 src0_sel:BYTE_0 src1_sel:DWORD
	v_mov_b32_e32 v21, 0
	v_mov_b32_e32 v28, 0
	s_and_saveexec_b64 s[18:19], s[72:73]
	s_cbranch_execz .LBB0_186
; %bb.181:                              ;   in Loop: Header=BB0_108 Depth=3
	v_cmp_ne_u16_sdwa s[74:75], v0, s36 src0_sel:BYTE_0 src1_sel:DWORD
	v_bfrev_b32_e32 v28, 1
	s_and_saveexec_b64 s[72:73], s[74:75]
	s_cbranch_execz .LBB0_185
; %bb.182:                              ;   in Loop: Header=BB0_108 Depth=3
	v_bfe_u32 v6, v20, 16, 7
	v_cmp_ne_u32_e32 vcc, s37, v6
	v_mov_b32_e32 v28, 0x7f800001
	s_and_saveexec_b64 s[74:75], vcc
	s_cbranch_execz .LBB0_184
; %bb.183:                              ;   in Loop: Header=BB0_108 Depth=3
	v_and_b32_e32 v30, 7, v0
	v_lshrrev_b32_e32 v31, 3, v6
	v_cmp_gt_u32_e32 vcc, 8, v6
	v_ffbh_u32_e32 v6, v30
	v_min_u32_e32 v6, 32, v6
	v_subrev_u32_e32 v28, 28, v6
	v_lshlrev_b64 v[28:29], v28, v[0:1]
	v_sub_u32_e32 v6, 29, v6
	v_and_b32_e32 v28, 7, v28
	v_cndmask_b32_e32 v6, v31, v6, vcc
	v_cndmask_b32_e32 v28, v30, v28, vcc
	v_lshlrev_b32_e32 v0, 24, v0
	v_lshlrev_b32_e32 v28, 20, v28
	v_and_b32_e32 v0, 0x80000000, v0
	v_lshl_add_u32 v6, v6, 23, v27
	v_or3_b32 v28, v0, v6, v28
.LBB0_184:                              ;   in Loop: Header=BB0_108 Depth=3
	s_or_b64 exec, exec, s[74:75]
.LBB0_185:                              ;   in Loop: Header=BB0_108 Depth=3
	s_or_b64 exec, exec, s[72:73]
.LBB0_186:                              ;   in Loop: Header=BB0_108 Depth=3
	s_or_b64 exec, exec, s[18:19]
	v_and_b32_sdwa v6, v42, s35 dst_sel:DWORD dst_unused:UNUSED_PAD src0_sel:WORD_1 src1_sel:DWORD
	v_lshrrev_b32_e32 v0, 16, v42
	v_cmp_ne_u16_e32 vcc, 0, v6
	s_and_saveexec_b64 s[18:19], vcc
	s_cbranch_execz .LBB0_192
; %bb.187:                              ;   in Loop: Header=BB0_108 Depth=3
	v_cmp_ne_u16_e32 vcc, s36, v6
	v_bfrev_b32_e32 v21, 1
	s_and_saveexec_b64 s[72:73], vcc
	s_cbranch_execz .LBB0_191
; %bb.188:                              ;   in Loop: Header=BB0_108 Depth=3
	v_bfe_u32 v6, v42, 16, 7
	v_cmp_ne_u32_e32 vcc, s37, v6
	v_mov_b32_e32 v21, 0x7f800001
	s_and_saveexec_b64 s[74:75], vcc
	s_cbranch_execz .LBB0_190
; %bb.189:                              ;   in Loop: Header=BB0_108 Depth=3
	v_and_b32_e32 v21, 7, v0
	v_lshrrev_b32_e32 v31, 3, v6
	v_cmp_gt_u32_e32 vcc, 8, v6
	v_ffbh_u32_e32 v6, v21
	v_min_u32_e32 v6, 32, v6
	v_subrev_u32_e32 v29, 28, v6
	v_lshlrev_b64 v[29:30], v29, v[0:1]
	v_sub_u32_e32 v0, 29, v6
	v_and_b32_e32 v6, 7, v29
	v_cndmask_b32_e32 v0, v31, v0, vcc
	v_cndmask_b32_e32 v6, v21, v6, vcc
	v_lshlrev_b32_e32 v21, 8, v42
	v_lshlrev_b32_e32 v6, 20, v6
	v_and_b32_e32 v21, 0x80000000, v21
	v_lshl_add_u32 v0, v0, 23, v27
	v_or3_b32 v21, v21, v0, v6
.LBB0_190:                              ;   in Loop: Header=BB0_108 Depth=3
	s_or_b64 exec, exec, s[74:75]
.LBB0_191:                              ;   in Loop: Header=BB0_108 Depth=3
	s_or_b64 exec, exec, s[72:73]
.LBB0_192:                              ;   in Loop: Header=BB0_108 Depth=3
	s_or_b64 exec, exec, s[18:19]
	v_mul_f32_e32 v21, v28, v21
	v_and_b32_e32 v28, 0x7f800000, v21
	v_mov_b32_e32 v29, v43
	v_cmp_ne_u64_e32 vcc, s[46:47], v[28:29]
                                        ; implicit-def: $vgpr30
	s_and_saveexec_b64 s[18:19], vcc
	s_xor_b64 s[72:73], exec, s[18:19]
	s_cbranch_execz .LBB0_206
; %bb.193:                              ;   in Loop: Header=BB0_108 Depth=3
	v_and_b32_e32 v28, 0x7fffffff, v21
	v_mov_b32_e32 v29, v43
	v_cmp_gt_u64_e32 vcc, s[56:57], v[28:29]
	v_and_b32_sdwa v0, v21, s36 dst_sel:DWORD dst_unused:UNUSED_PAD src0_sel:BYTE_3 src1_sel:DWORD
                                        ; implicit-def: $vgpr30
	s_and_saveexec_b64 s[18:19], vcc
	s_xor_b64 s[74:75], exec, s[18:19]
	s_cbranch_execz .LBB0_203
; %bb.194:                              ;   in Loop: Header=BB0_108 Depth=3
	v_mov_b32_e32 v30, 0
	v_cmp_ne_u32_e32 vcc, 0, v21
	s_and_saveexec_b64 s[76:77], vcc
	s_cbranch_execz .LBB0_202
; %bb.195:                              ;   in Loop: Header=BB0_108 Depth=3
	v_and_b32_e32 v28, 0x7fffff, v21
	v_bfe_u32 v21, v21, 23, 8
	v_cmp_gt_u32_e64 s[18:19], s38, v21
	v_sub_u32_e32 v6, 0x79, v21
	v_cmp_eq_u32_e32 vcc, 0, v21
	v_cndmask_b32_e64 v6, 0, v6, s[18:19]
	v_cndmask_b32_e32 v6, v6, v5, vcc
	v_add_u32_e32 v30, 20, v6
	v_or_b32_e32 v29, 0x800000, v28
	v_lshlrev_b64 v[30:31], v30, -1
	v_add_u32_e32 v58, 19, v6
	v_cndmask_b32_e32 v28, v29, v28, vcc
	v_lshlrev_b64 v[58:59], v58, 1
	v_mov_b32_e32 v29, v43
	v_bfi_b32 v31, v31, 0, 0
	v_bfi_b32 v30, v30, 0, v28
	v_cmp_eq_u64_e64 s[18:19], v[30:31], v[58:59]
	v_lshrrev_b64 v[30:31], v6, v[28:29]
	v_mov_b32_e32 v28, v30
	v_mov_b32_e32 v29, v31
	s_and_saveexec_b64 s[78:79], s[18:19]
; %bb.196:                              ;   in Loop: Header=BB0_108 Depth=3
	v_bfe_u32 v28, v30, 20, 1
	v_add_co_u32_e64 v28, s[18:19], v30, v28
	v_add_co_u32_e64 v28, s[18:19], -1, v28
; %bb.197:                              ;   in Loop: Header=BB0_108 Depth=3
	s_or_b64 exec, exec, s[78:79]
	v_add_u32_e32 v21, 0xffffff81, v21
	v_cndmask_b32_e32 v21, v21, v8, vcc
	v_lshrrev_b32_e32 v29, 23, v30
	v_add3_u32 v29, v6, v21, v29
	v_add_u32_e32 v6, 6, v29
	v_and_b32_e32 v21, 0xfffff, v28
	v_add_u32_e32 v30, v21, v30
	v_mov_b32_e32 v31, v43
	v_cmp_ne_u32_e32 vcc, 0, v6
                                        ; implicit-def: $vgpr21
	s_and_saveexec_b64 s[18:19], vcc
	s_xor_b64 s[18:19], exec, s[18:19]
; %bb.198:                              ;   in Loop: Header=BB0_108 Depth=3
	v_cmp_lt_u64_e32 vcc, s[58:59], v[30:31]
	v_add_u32_e32 v21, 7, v29
	v_cndmask_b32_e32 v21, v6, v21, vcc
	v_cndmask_b32_e64 v6, 0, 1, vcc
	v_lshrrev_b64 v[30:31], v6, v[30:31]
; %bb.199:                              ;   in Loop: Header=BB0_108 Depth=3
	s_andn2_saveexec_b64 s[18:19], s[18:19]
; %bb.200:                              ;   in Loop: Header=BB0_108 Depth=3
	v_bfe_u32 v21, v30, 23, 1
; %bb.201:                              ;   in Loop: Header=BB0_108 Depth=3
	s_or_b64 exec, exec, s[18:19]
	v_lshrrev_b64 v[28:29], 20, v[30:31]
	v_cmp_gt_i32_e32 vcc, 16, v21
	v_cndmask_b32_e32 v29, 0, v29, vcc
	v_cndmask_b32_e32 v28, 7, v28, vcc
	v_min_i32_e32 v6, 15, v21
	v_cmp_eq_u64_e64 s[18:19], 0, v[28:29]
	v_lshlrev_b32_e32 v6, 3, v6
	v_cmp_eq_u32_e32 vcc, 0, v21
	v_and_b32_e32 v6, 0xf8, v6
	v_and_or_b32 v6, v28, 7, v6
	s_and_b64 s[18:19], vcc, s[18:19]
	v_cndmask_b32_e64 v6, v6, 0, s[18:19]
	v_or_b32_e32 v30, v6, v0
.LBB0_202:                              ;   in Loop: Header=BB0_108 Depth=3
	s_or_b64 exec, exec, s[76:77]
                                        ; implicit-def: $vgpr0
.LBB0_203:                              ;   in Loop: Header=BB0_108 Depth=3
	s_andn2_saveexec_b64 s[18:19], s[74:75]
; %bb.204:                              ;   in Loop: Header=BB0_108 Depth=3
	v_or_b32_e32 v30, 0x7e, v0
; %bb.205:                              ;   in Loop: Header=BB0_108 Depth=3
	s_or_b64 exec, exec, s[18:19]
                                        ; implicit-def: $vgpr21
.LBB0_206:                              ;   in Loop: Header=BB0_108 Depth=3
	s_andn2_saveexec_b64 s[18:19], s[72:73]
; %bb.207:                              ;   in Loop: Header=BB0_108 Depth=3
	v_or_b32_sdwa v30, v21, s37 dst_sel:DWORD dst_unused:UNUSED_PAD src0_sel:BYTE_3 src1_sel:DWORD
; %bb.208:                              ;   in Loop: Header=BB0_108 Depth=3
	s_or_b64 exec, exec, s[18:19]
	v_cmp_lt_u32_e32 vcc, s39, v20
	v_mov_b32_e32 v21, 0
	v_mov_b32_e32 v28, 0
	s_and_saveexec_b64 s[18:19], vcc
	s_cbranch_execz .LBB0_214
; %bb.209:                              ;   in Loop: Header=BB0_108 Depth=3
	v_lshrrev_b32_e32 v0, 24, v20
	v_cmp_ne_u32_e32 vcc, s36, v0
	v_bfrev_b32_e32 v28, 1
	s_and_saveexec_b64 s[72:73], vcc
	s_cbranch_execz .LBB0_213
; %bb.210:                              ;   in Loop: Header=BB0_108 Depth=3
	v_bfe_u32 v6, v20, 24, 7
	v_cmp_ne_u32_e32 vcc, s37, v6
	v_mov_b32_e32 v28, 0x7f800001
	s_and_saveexec_b64 s[74:75], vcc
	s_cbranch_execz .LBB0_212
; %bb.211:                              ;   in Loop: Header=BB0_108 Depth=3
	v_and_b32_e32 v20, 7, v0
	v_lshrrev_b32_e32 v31, 3, v6
	v_cmp_gt_u32_e32 vcc, 8, v6
	v_ffbh_u32_e32 v6, v20
	v_min_u32_e32 v6, 32, v6
	v_subrev_u32_e32 v28, 28, v6
	v_lshlrev_b64 v[28:29], v28, v[0:1]
	v_sub_u32_e32 v6, 29, v6
	v_and_b32_e32 v28, 7, v28
	v_cndmask_b32_e32 v6, v31, v6, vcc
	v_cndmask_b32_e32 v20, v20, v28, vcc
	v_lshlrev_b32_e32 v0, 24, v0
	v_lshlrev_b32_e32 v20, 20, v20
	v_and_b32_e32 v0, 0x80000000, v0
	v_lshl_add_u32 v6, v6, 23, v27
	v_or3_b32 v28, v0, v6, v20
.LBB0_212:                              ;   in Loop: Header=BB0_108 Depth=3
	s_or_b64 exec, exec, s[74:75]
.LBB0_213:                              ;   in Loop: Header=BB0_108 Depth=3
	s_or_b64 exec, exec, s[72:73]
.LBB0_214:                              ;   in Loop: Header=BB0_108 Depth=3
	s_or_b64 exec, exec, s[18:19]
	v_cmp_lt_u32_e32 vcc, s39, v42
	s_and_saveexec_b64 s[18:19], vcc
	s_cbranch_execz .LBB0_220
; %bb.215:                              ;   in Loop: Header=BB0_108 Depth=3
	v_lshrrev_b32_e32 v0, 24, v42
	v_cmp_ne_u32_sdwa s[74:75], v42, s36 src0_sel:BYTE_3 src1_sel:DWORD
	v_bfrev_b32_e32 v21, 1
	s_and_saveexec_b64 s[72:73], s[74:75]
	s_cbranch_execz .LBB0_219
; %bb.216:                              ;   in Loop: Header=BB0_108 Depth=3
	v_bfe_u32 v6, v42, 24, 7
	v_cmp_ne_u32_e32 vcc, s37, v6
	v_mov_b32_e32 v21, 0x7f800001
	s_and_saveexec_b64 s[74:75], vcc
	s_cbranch_execz .LBB0_218
; %bb.217:                              ;   in Loop: Header=BB0_108 Depth=3
	v_and_b32_e32 v29, 7, v0
	v_lshrrev_b32_e32 v31, 3, v6
	v_cmp_gt_u32_e32 vcc, 8, v6
	v_ffbh_u32_e32 v6, v29
	v_min_u32_e32 v6, 32, v6
	v_subrev_u32_e32 v20, 28, v6
	v_lshlrev_b64 v[20:21], v20, v[0:1]
	v_sub_u32_e32 v0, 29, v6
	v_and_b32_e32 v6, 7, v20
	v_cndmask_b32_e32 v0, v31, v0, vcc
	v_cndmask_b32_e32 v6, v29, v6, vcc
	v_lshlrev_b32_sdwa v20, v9, v42 dst_sel:DWORD dst_unused:UNUSED_PAD src0_sel:DWORD src1_sel:BYTE_3
	v_lshlrev_b32_e32 v6, 20, v6
	v_and_b32_e32 v20, 0x80000000, v20
	v_lshl_add_u32 v0, v0, 23, v27
	v_or3_b32 v21, v20, v0, v6
.LBB0_218:                              ;   in Loop: Header=BB0_108 Depth=3
	s_or_b64 exec, exec, s[74:75]
.LBB0_219:                              ;   in Loop: Header=BB0_108 Depth=3
	s_or_b64 exec, exec, s[72:73]
.LBB0_220:                              ;   in Loop: Header=BB0_108 Depth=3
	s_or_b64 exec, exec, s[18:19]
	v_mul_f32_e32 v20, v28, v21
	v_and_b32_e32 v42, 0x7f800000, v20
	v_cmp_ne_u64_e32 vcc, s[46:47], v[42:43]
                                        ; implicit-def: $vgpr31
	s_and_saveexec_b64 s[18:19], vcc
	s_xor_b64 s[72:73], exec, s[18:19]
	s_cbranch_execz .LBB0_234
; %bb.221:                              ;   in Loop: Header=BB0_108 Depth=3
	v_and_b32_e32 v42, 0x7fffffff, v20
	v_cmp_gt_u64_e32 vcc, s[56:57], v[42:43]
	v_and_b32_sdwa v0, v20, s36 dst_sel:DWORD dst_unused:UNUSED_PAD src0_sel:BYTE_3 src1_sel:DWORD
                                        ; implicit-def: $vgpr31
	s_and_saveexec_b64 s[18:19], vcc
	s_xor_b64 s[74:75], exec, s[18:19]
	s_cbranch_execz .LBB0_231
; %bb.222:                              ;   in Loop: Header=BB0_108 Depth=3
	v_mov_b32_e32 v31, 0
	v_cmp_ne_u32_e32 vcc, 0, v20
	s_and_saveexec_b64 s[76:77], vcc
	s_cbranch_execz .LBB0_230
; %bb.223:                              ;   in Loop: Header=BB0_108 Depth=3
	v_bfe_u32 v31, v20, 23, 8
	v_cmp_gt_u32_e64 s[18:19], s38, v31
	v_sub_u32_e32 v6, 0x79, v31
	v_and_b32_e32 v21, 0x7fffff, v20
	v_cmp_eq_u32_e32 vcc, 0, v31
	v_cndmask_b32_e64 v6, 0, v6, s[18:19]
	v_or_b32_e32 v20, 0x800000, v21
	v_cndmask_b32_e32 v6, v6, v5, vcc
	v_cndmask_b32_e32 v42, v20, v21, vcc
	v_add_u32_e32 v20, 20, v6
	v_lshlrev_b64 v[20:21], v20, -1
	v_add_u32_e32 v28, 19, v6
	v_lshlrev_b64 v[28:29], v28, 1
	v_bfi_b32 v21, v21, 0, 0
	v_bfi_b32 v20, v20, 0, v42
	v_cmp_eq_u64_e64 s[18:19], v[20:21], v[28:29]
	v_lshrrev_b64 v[20:21], v6, v[42:43]
	v_mov_b32_e32 v29, v21
	v_mov_b32_e32 v28, v20
	s_and_saveexec_b64 s[78:79], s[18:19]
; %bb.224:                              ;   in Loop: Header=BB0_108 Depth=3
	v_bfe_u32 v21, v20, 20, 1
	v_add_co_u32_e64 v21, s[18:19], v20, v21
	v_add_co_u32_e64 v28, s[18:19], -1, v21
; %bb.225:                              ;   in Loop: Header=BB0_108 Depth=3
	s_or_b64 exec, exec, s[78:79]
	v_add_u32_e32 v21, 0xffffff81, v31
	v_cndmask_b32_e32 v21, v21, v8, vcc
	v_lshrrev_b32_e32 v29, 23, v20
	v_add3_u32 v29, v6, v21, v29
	v_add_u32_e32 v6, 6, v29
	v_and_b32_e32 v21, 0xfffff, v28
	v_add_u32_e32 v42, v21, v20
	v_cmp_ne_u32_e32 vcc, 0, v6
                                        ; implicit-def: $vgpr20_vgpr21
                                        ; implicit-def: $vgpr28
	s_and_saveexec_b64 s[18:19], vcc
	s_xor_b64 s[18:19], exec, s[18:19]
; %bb.226:                              ;   in Loop: Header=BB0_108 Depth=3
	v_cmp_lt_u64_e32 vcc, s[58:59], v[42:43]
	v_add_u32_e32 v20, 7, v29
	v_cndmask_b32_e32 v28, v6, v20, vcc
	v_cndmask_b32_e64 v6, 0, 1, vcc
	v_lshrrev_b64 v[20:21], v6, v[42:43]
; %bb.227:                              ;   in Loop: Header=BB0_108 Depth=3
	s_andn2_saveexec_b64 s[18:19], s[18:19]
; %bb.228:                              ;   in Loop: Header=BB0_108 Depth=3
	v_mov_b32_e32 v20, v42
	v_bfe_u32 v28, v42, 23, 1
	v_mov_b32_e32 v21, v43
; %bb.229:                              ;   in Loop: Header=BB0_108 Depth=3
	s_or_b64 exec, exec, s[18:19]
	v_lshrrev_b64 v[20:21], 20, v[20:21]
	v_cmp_gt_i32_e32 vcc, 16, v28
	v_cndmask_b32_e32 v21, 0, v21, vcc
	v_cndmask_b32_e32 v20, 7, v20, vcc
	v_min_i32_e32 v6, 15, v28
	v_cmp_eq_u64_e64 s[18:19], 0, v[20:21]
	v_lshlrev_b32_e32 v6, 3, v6
	v_cmp_eq_u32_e32 vcc, 0, v28
	v_and_b32_e32 v6, 0xf8, v6
	v_and_or_b32 v6, v20, 7, v6
	s_and_b64 s[18:19], vcc, s[18:19]
	v_cndmask_b32_e64 v6, v6, 0, s[18:19]
	v_or_b32_e32 v31, v6, v0
.LBB0_230:                              ;   in Loop: Header=BB0_108 Depth=3
	s_or_b64 exec, exec, s[76:77]
                                        ; implicit-def: $vgpr0
.LBB0_231:                              ;   in Loop: Header=BB0_108 Depth=3
	s_andn2_saveexec_b64 s[18:19], s[74:75]
; %bb.232:                              ;   in Loop: Header=BB0_108 Depth=3
	v_or_b32_e32 v31, 0x7e, v0
; %bb.233:                              ;   in Loop: Header=BB0_108 Depth=3
	s_or_b64 exec, exec, s[18:19]
                                        ; implicit-def: $vgpr20
.LBB0_234:                              ;   in Loop: Header=BB0_108 Depth=3
	s_andn2_saveexec_b64 s[18:19], s[72:73]
; %bb.235:                              ;   in Loop: Header=BB0_108 Depth=3
	v_or_b32_sdwa v31, v20, s37 dst_sel:DWORD dst_unused:UNUSED_PAD src0_sel:BYTE_3 src1_sel:DWORD
; %bb.236:                              ;   in Loop: Header=BB0_108 Depth=3
	s_or_b64 exec, exec, s[18:19]
	v_cmp_ne_u16_sdwa s[72:73], v22, v43 src0_sel:BYTE_0 src1_sel:DWORD
	v_mov_b32_e32 v0, 0
	v_mov_b32_e32 v20, 0
	s_and_saveexec_b64 s[18:19], s[72:73]
	s_cbranch_execz .LBB0_242
; %bb.237:                              ;   in Loop: Header=BB0_108 Depth=3
	v_cmp_ne_u16_sdwa s[74:75], v22, s36 src0_sel:BYTE_0 src1_sel:DWORD
	v_bfrev_b32_e32 v20, 1
	s_and_saveexec_b64 s[72:73], s[74:75]
	s_cbranch_execz .LBB0_241
; %bb.238:                              ;   in Loop: Header=BB0_108 Depth=3
	v_and_b32_e32 v6, 0x7f, v22
	v_cmp_ne_u32_e32 vcc, s37, v6
	v_mov_b32_e32 v20, 0x7f800001
	s_and_saveexec_b64 s[74:75], vcc
	s_cbranch_execz .LBB0_240
; %bb.239:                              ;   in Loop: Header=BB0_108 Depth=3
	v_and_b32_e32 v20, 7, v22
	v_lshrrev_b32_e32 v21, 3, v6
	v_cmp_gt_u32_e32 vcc, 8, v6
	v_ffbh_u32_e32 v6, v20
	v_min_u32_e32 v6, 32, v6
	v_subrev_u32_e32 v20, 28, v6
	v_sub_u32_e32 v6, 29, v6
	v_cndmask_b32_e32 v20, 0, v20, vcc
	v_cndmask_b32_e32 v6, v21, v6, vcc
	v_lshlrev_b64 v[20:21], v20, v[22:23]
	v_lshlrev_b32_e32 v21, 24, v22
	v_lshlrev_b32_e32 v20, 20, v20
	v_and_b32_e32 v20, 0x700000, v20
	v_and_b32_e32 v21, 0x80000000, v21
	v_lshl_add_u32 v6, v6, 23, v27
	v_or3_b32 v20, v21, v6, v20
.LBB0_240:                              ;   in Loop: Header=BB0_108 Depth=3
	s_or_b64 exec, exec, s[74:75]
.LBB0_241:                              ;   in Loop: Header=BB0_108 Depth=3
	s_or_b64 exec, exec, s[72:73]
.LBB0_242:                              ;   in Loop: Header=BB0_108 Depth=3
	s_or_b64 exec, exec, s[18:19]
	v_alignbit_b32 v42, v35, v46, v47
	v_cmp_ne_u16_sdwa s[72:73], v42, v43 src0_sel:BYTE_0 src1_sel:DWORD
	s_and_saveexec_b64 s[18:19], s[72:73]
	s_cbranch_execz .LBB0_248
; %bb.243:                              ;   in Loop: Header=BB0_108 Depth=3
	v_cmp_ne_u16_sdwa s[74:75], v42, s36 src0_sel:BYTE_0 src1_sel:DWORD
	v_bfrev_b32_e32 v0, 1
	s_and_saveexec_b64 s[72:73], s[74:75]
	s_cbranch_execz .LBB0_247
; %bb.244:                              ;   in Loop: Header=BB0_108 Depth=3
	v_and_b32_e32 v6, 0x7f, v42
	v_cmp_ne_u32_e32 vcc, s37, v6
	v_mov_b32_e32 v0, 0x7f800001
	s_and_saveexec_b64 s[74:75], vcc
	s_cbranch_execz .LBB0_246
; %bb.245:                              ;   in Loop: Header=BB0_108 Depth=3
	v_and_b32_e32 v0, 7, v42
	v_ffbh_u32_e32 v0, v0
	v_min_u32_e32 v0, 32, v0
	v_lshrrev_b32_e32 v21, 3, v6
	v_cmp_gt_u32_e32 vcc, 8, v6
	v_subrev_u32_e32 v6, 28, v0
	v_cndmask_b32_e32 v6, 0, v6, vcc
	v_lshlrev_b64 v[28:29], v6, v[42:43]
	v_sub_u32_e32 v0, 29, v0
	v_cndmask_b32_e32 v0, v21, v0, vcc
	v_lshlrev_b32_e32 v6, 20, v28
	v_lshlrev_b32_e32 v21, 24, v42
	v_and_b32_e32 v6, 0x700000, v6
	v_and_b32_e32 v21, 0x80000000, v21
	v_lshl_add_u32 v0, v0, 23, v27
	v_or3_b32 v0, v21, v0, v6
.LBB0_246:                              ;   in Loop: Header=BB0_108 Depth=3
	s_or_b64 exec, exec, s[74:75]
.LBB0_247:                              ;   in Loop: Header=BB0_108 Depth=3
	s_or_b64 exec, exec, s[72:73]
.LBB0_248:                              ;   in Loop: Header=BB0_108 Depth=3
	s_or_b64 exec, exec, s[18:19]
	v_mul_f32_e32 v20, v20, v0
	v_and_b32_e32 v28, 0x7f800000, v20
	v_mov_b32_e32 v29, v43
	v_cmp_ne_u64_e32 vcc, s[46:47], v[28:29]
                                        ; implicit-def: $vgpr23
	s_and_saveexec_b64 s[18:19], vcc
	s_xor_b64 s[72:73], exec, s[18:19]
	s_cbranch_execz .LBB0_262
; %bb.249:                              ;   in Loop: Header=BB0_108 Depth=3
	v_and_b32_e32 v28, 0x7fffffff, v20
	v_mov_b32_e32 v29, v43
	v_cmp_gt_u64_e32 vcc, s[56:57], v[28:29]
	v_and_b32_sdwa v0, v20, s36 dst_sel:DWORD dst_unused:UNUSED_PAD src0_sel:BYTE_3 src1_sel:DWORD
                                        ; implicit-def: $vgpr23
	s_and_saveexec_b64 s[18:19], vcc
	s_xor_b64 s[74:75], exec, s[18:19]
	s_cbranch_execz .LBB0_259
; %bb.250:                              ;   in Loop: Header=BB0_108 Depth=3
	v_mov_b32_e32 v23, 0
	v_cmp_ne_u32_e32 vcc, 0, v20
	s_and_saveexec_b64 s[76:77], vcc
	s_cbranch_execz .LBB0_258
; %bb.251:                              ;   in Loop: Header=BB0_108 Depth=3
	v_bfe_u32 v23, v20, 23, 8
	v_cmp_gt_u32_e64 s[18:19], s38, v23
	v_sub_u32_e32 v6, 0x79, v23
	v_cmp_eq_u32_e32 vcc, 0, v23
	v_cndmask_b32_e64 v6, 0, v6, s[18:19]
	v_cndmask_b32_e32 v6, v6, v5, vcc
	v_and_b32_e32 v21, 0x7fffff, v20
	v_add_u32_e32 v28, 20, v6
	v_or_b32_e32 v20, 0x800000, v21
	v_lshlrev_b64 v[28:29], v28, -1
	v_cndmask_b32_e32 v20, v20, v21, vcc
	v_mov_b32_e32 v21, v43
	v_add_u32_e32 v35, 19, v6
	v_bfi_b32 v28, v28, 0, v20
	v_lshlrev_b64 v[46:47], v35, 1
	v_lshrrev_b64 v[20:21], v6, v[20:21]
	v_bfi_b32 v29, v29, 0, 0
	v_cmp_eq_u64_e64 s[18:19], v[28:29], v[46:47]
	v_mov_b32_e32 v29, v21
	v_mov_b32_e32 v28, v20
	s_and_saveexec_b64 s[78:79], s[18:19]
; %bb.252:                              ;   in Loop: Header=BB0_108 Depth=3
	v_bfe_u32 v21, v20, 20, 1
	v_add_co_u32_e64 v21, s[18:19], v20, v21
	v_add_co_u32_e64 v28, s[18:19], -1, v21
; %bb.253:                              ;   in Loop: Header=BB0_108 Depth=3
	s_or_b64 exec, exec, s[78:79]
	v_add_u32_e32 v21, 0xffffff81, v23
	v_cndmask_b32_e32 v21, v21, v8, vcc
	v_lshrrev_b32_e32 v23, 23, v20
	v_add3_u32 v29, v6, v21, v23
	v_add_u32_e32 v6, 6, v29
	v_and_b32_e32 v21, 0xfffff, v28
	v_add_u32_e32 v20, v21, v20
	v_mov_b32_e32 v21, v43
	v_cmp_ne_u32_e32 vcc, 0, v6
                                        ; implicit-def: $vgpr23
	s_and_saveexec_b64 s[18:19], vcc
	s_xor_b64 s[18:19], exec, s[18:19]
; %bb.254:                              ;   in Loop: Header=BB0_108 Depth=3
	v_cmp_lt_u64_e32 vcc, s[58:59], v[20:21]
	v_add_u32_e32 v23, 7, v29
	v_cndmask_b32_e32 v23, v6, v23, vcc
	v_cndmask_b32_e64 v6, 0, 1, vcc
	v_lshrrev_b64 v[20:21], v6, v[20:21]
; %bb.255:                              ;   in Loop: Header=BB0_108 Depth=3
	s_andn2_saveexec_b64 s[18:19], s[18:19]
; %bb.256:                              ;   in Loop: Header=BB0_108 Depth=3
	v_bfe_u32 v23, v20, 23, 1
; %bb.257:                              ;   in Loop: Header=BB0_108 Depth=3
	s_or_b64 exec, exec, s[18:19]
	v_lshrrev_b64 v[20:21], 20, v[20:21]
	v_cmp_gt_i32_e32 vcc, 16, v23
	v_cndmask_b32_e32 v21, 0, v21, vcc
	v_cndmask_b32_e32 v20, 7, v20, vcc
	v_min_i32_e32 v6, 15, v23
	v_cmp_eq_u64_e64 s[18:19], 0, v[20:21]
	v_lshlrev_b32_e32 v6, 3, v6
	v_cmp_eq_u32_e32 vcc, 0, v23
	v_and_b32_e32 v6, 0xf8, v6
	v_and_or_b32 v6, v20, 7, v6
	s_and_b64 s[18:19], vcc, s[18:19]
	v_cndmask_b32_e64 v6, v6, 0, s[18:19]
	v_or_b32_e32 v23, v6, v0
.LBB0_258:                              ;   in Loop: Header=BB0_108 Depth=3
	s_or_b64 exec, exec, s[76:77]
                                        ; implicit-def: $vgpr0
.LBB0_259:                              ;   in Loop: Header=BB0_108 Depth=3
	s_andn2_saveexec_b64 s[18:19], s[74:75]
; %bb.260:                              ;   in Loop: Header=BB0_108 Depth=3
	v_or_b32_e32 v23, 0x7e, v0
; %bb.261:                              ;   in Loop: Header=BB0_108 Depth=3
	s_or_b64 exec, exec, s[18:19]
                                        ; implicit-def: $vgpr20
.LBB0_262:                              ;   in Loop: Header=BB0_108 Depth=3
	s_andn2_saveexec_b64 s[18:19], s[72:73]
; %bb.263:                              ;   in Loop: Header=BB0_108 Depth=3
	v_or_b32_sdwa v23, v20, s37 dst_sel:DWORD dst_unused:UNUSED_PAD src0_sel:BYTE_3 src1_sel:DWORD
; %bb.264:                              ;   in Loop: Header=BB0_108 Depth=3
	s_or_b64 exec, exec, s[18:19]
	v_lshrrev_b16_e32 v0, 8, v22
	v_cmp_ne_u16_e32 vcc, 0, v0
	v_mov_b32_e32 v20, 0
	v_mov_b32_e32 v21, 0
	s_and_saveexec_b64 s[18:19], vcc
	s_cbranch_execz .LBB0_270
; %bb.265:                              ;   in Loop: Header=BB0_108 Depth=3
	v_cmp_ne_u16_e32 vcc, s36, v0
	v_bfrev_b32_e32 v21, 1
	s_and_saveexec_b64 s[72:73], vcc
	s_cbranch_execz .LBB0_269
; %bb.266:                              ;   in Loop: Header=BB0_108 Depth=3
	v_and_b32_e32 v6, 0x7f, v0
	v_cmp_ne_u32_e32 vcc, s37, v6
	v_mov_b32_e32 v21, 0x7f800001
	s_and_saveexec_b64 s[74:75], vcc
	s_cbranch_execz .LBB0_268
; %bb.267:                              ;   in Loop: Header=BB0_108 Depth=3
	v_and_b32_e32 v21, 7, v0
	v_lshrrev_b32_e32 v35, 3, v6
	v_cmp_gt_u32_e32 vcc, 8, v6
	v_ffbh_u32_e32 v6, v21
	v_min_u32_e32 v6, 32, v6
	v_subrev_u32_e32 v28, 28, v6
	v_lshlrev_b64 v[28:29], v28, v[0:1]
	v_sub_u32_e32 v0, 29, v6
	v_and_b32_e32 v6, 7, v28
	v_cndmask_b32_e32 v0, v35, v0, vcc
	v_cndmask_b32_e32 v6, v21, v6, vcc
	v_lshlrev_b32_e32 v21, 16, v22
	v_lshlrev_b32_e32 v6, 20, v6
	v_and_b32_e32 v21, 0x80000000, v21
	v_lshl_add_u32 v0, v0, 23, v27
	v_or3_b32 v21, v21, v0, v6
.LBB0_268:                              ;   in Loop: Header=BB0_108 Depth=3
	s_or_b64 exec, exec, s[74:75]
.LBB0_269:                              ;   in Loop: Header=BB0_108 Depth=3
	s_or_b64 exec, exec, s[72:73]
.LBB0_270:                              ;   in Loop: Header=BB0_108 Depth=3
	s_or_b64 exec, exec, s[18:19]
	v_lshrrev_b16_e32 v0, 8, v42
	v_cmp_ne_u16_e32 vcc, 0, v0
	s_and_saveexec_b64 s[18:19], vcc
	s_cbranch_execz .LBB0_276
; %bb.271:                              ;   in Loop: Header=BB0_108 Depth=3
	v_cmp_ne_u16_e32 vcc, s36, v0
	v_bfrev_b32_e32 v20, 1
	s_and_saveexec_b64 s[72:73], vcc
	s_cbranch_execz .LBB0_275
; %bb.272:                              ;   in Loop: Header=BB0_108 Depth=3
	v_and_b32_e32 v6, 0x7f, v0
	v_cmp_ne_u32_e32 vcc, s37, v6
	v_mov_b32_e32 v20, 0x7f800001
	s_and_saveexec_b64 s[74:75], vcc
	s_cbranch_execz .LBB0_274
; %bb.273:                              ;   in Loop: Header=BB0_108 Depth=3
	v_and_b32_e32 v20, 7, v0
	v_lshrrev_b32_e32 v35, 3, v6
	v_cmp_gt_u32_e32 vcc, 8, v6
	v_ffbh_u32_e32 v6, v20
	v_min_u32_e32 v6, 32, v6
	v_subrev_u32_e32 v28, 28, v6
	v_lshlrev_b64 v[28:29], v28, v[0:1]
	v_sub_u32_e32 v0, 29, v6
	v_and_b32_e32 v6, 7, v28
	v_cndmask_b32_e32 v0, v35, v0, vcc
	v_cndmask_b32_e32 v6, v20, v6, vcc
	v_lshlrev_b32_e32 v20, 16, v42
	v_lshlrev_b32_e32 v6, 20, v6
	v_and_b32_e32 v20, 0x80000000, v20
	v_lshl_add_u32 v0, v0, 23, v27
	v_or3_b32 v20, v20, v0, v6
.LBB0_274:                              ;   in Loop: Header=BB0_108 Depth=3
	s_or_b64 exec, exec, s[74:75]
.LBB0_275:                              ;   in Loop: Header=BB0_108 Depth=3
	s_or_b64 exec, exec, s[72:73]
.LBB0_276:                              ;   in Loop: Header=BB0_108 Depth=3
	s_or_b64 exec, exec, s[18:19]
	v_mul_f32_e32 v20, v21, v20
	v_and_b32_e32 v28, 0x7f800000, v20
	v_mov_b32_e32 v29, v43
	v_cmp_ne_u64_e32 vcc, s[46:47], v[28:29]
                                        ; implicit-def: $vgpr35
	s_and_saveexec_b64 s[18:19], vcc
	s_xor_b64 s[72:73], exec, s[18:19]
	s_cbranch_execz .LBB0_290
; %bb.277:                              ;   in Loop: Header=BB0_108 Depth=3
	v_and_b32_e32 v28, 0x7fffffff, v20
	v_mov_b32_e32 v29, v43
	v_cmp_gt_u64_e32 vcc, s[56:57], v[28:29]
	v_and_b32_sdwa v0, v20, s36 dst_sel:DWORD dst_unused:UNUSED_PAD src0_sel:BYTE_3 src1_sel:DWORD
                                        ; implicit-def: $vgpr35
	s_and_saveexec_b64 s[18:19], vcc
	s_xor_b64 s[74:75], exec, s[18:19]
	s_cbranch_execz .LBB0_287
; %bb.278:                              ;   in Loop: Header=BB0_108 Depth=3
	v_mov_b32_e32 v35, 0
	v_cmp_ne_u32_e32 vcc, 0, v20
	s_and_saveexec_b64 s[76:77], vcc
	s_cbranch_execz .LBB0_286
; %bb.279:                              ;   in Loop: Header=BB0_108 Depth=3
	v_bfe_u32 v35, v20, 23, 8
	v_cmp_gt_u32_e64 s[18:19], s38, v35
	v_sub_u32_e32 v6, 0x79, v35
	v_cmp_eq_u32_e32 vcc, 0, v35
	v_cndmask_b32_e64 v6, 0, v6, s[18:19]
	v_cndmask_b32_e32 v6, v6, v5, vcc
	v_and_b32_e32 v21, 0x7fffff, v20
	v_add_u32_e32 v28, 20, v6
	v_or_b32_e32 v20, 0x800000, v21
	v_lshlrev_b64 v[28:29], v28, -1
	v_cndmask_b32_e32 v20, v20, v21, vcc
	v_mov_b32_e32 v21, v43
	v_add_u32_e32 v46, 19, v6
	v_bfi_b32 v28, v28, 0, v20
	v_lshlrev_b64 v[46:47], v46, 1
	v_lshrrev_b64 v[20:21], v6, v[20:21]
	v_bfi_b32 v29, v29, 0, 0
	v_cmp_eq_u64_e64 s[18:19], v[28:29], v[46:47]
	v_mov_b32_e32 v29, v21
	v_mov_b32_e32 v28, v20
	s_and_saveexec_b64 s[78:79], s[18:19]
; %bb.280:                              ;   in Loop: Header=BB0_108 Depth=3
	v_bfe_u32 v21, v20, 20, 1
	v_add_co_u32_e64 v21, s[18:19], v20, v21
	v_add_co_u32_e64 v28, s[18:19], -1, v21
; %bb.281:                              ;   in Loop: Header=BB0_108 Depth=3
	s_or_b64 exec, exec, s[78:79]
	v_add_u32_e32 v21, 0xffffff81, v35
	v_cndmask_b32_e32 v21, v21, v8, vcc
	v_lshrrev_b32_e32 v29, 23, v20
	v_add3_u32 v29, v6, v21, v29
	v_add_u32_e32 v6, 6, v29
	v_and_b32_e32 v21, 0xfffff, v28
	v_add_u32_e32 v20, v21, v20
	v_mov_b32_e32 v21, v43
	v_cmp_ne_u32_e32 vcc, 0, v6
                                        ; implicit-def: $vgpr28
	s_and_saveexec_b64 s[18:19], vcc
	s_xor_b64 s[18:19], exec, s[18:19]
; %bb.282:                              ;   in Loop: Header=BB0_108 Depth=3
	v_cmp_lt_u64_e32 vcc, s[58:59], v[20:21]
	v_add_u32_e32 v28, 7, v29
	v_cndmask_b32_e32 v28, v6, v28, vcc
	v_cndmask_b32_e64 v6, 0, 1, vcc
	v_lshrrev_b64 v[20:21], v6, v[20:21]
; %bb.283:                              ;   in Loop: Header=BB0_108 Depth=3
	s_andn2_saveexec_b64 s[18:19], s[18:19]
; %bb.284:                              ;   in Loop: Header=BB0_108 Depth=3
	v_bfe_u32 v28, v20, 23, 1
; %bb.285:                              ;   in Loop: Header=BB0_108 Depth=3
	s_or_b64 exec, exec, s[18:19]
	v_lshrrev_b64 v[20:21], 20, v[20:21]
	v_cmp_gt_i32_e32 vcc, 16, v28
	v_cndmask_b32_e32 v21, 0, v21, vcc
	v_cndmask_b32_e32 v20, 7, v20, vcc
	v_min_i32_e32 v6, 15, v28
	v_cmp_eq_u64_e64 s[18:19], 0, v[20:21]
	v_lshlrev_b32_e32 v6, 3, v6
	v_cmp_eq_u32_e32 vcc, 0, v28
	v_and_b32_e32 v6, 0xf8, v6
	v_and_or_b32 v6, v20, 7, v6
	s_and_b64 s[18:19], vcc, s[18:19]
	v_cndmask_b32_e64 v6, v6, 0, s[18:19]
	v_or_b32_e32 v35, v6, v0
.LBB0_286:                              ;   in Loop: Header=BB0_108 Depth=3
	s_or_b64 exec, exec, s[76:77]
                                        ; implicit-def: $vgpr0
.LBB0_287:                              ;   in Loop: Header=BB0_108 Depth=3
	s_andn2_saveexec_b64 s[18:19], s[74:75]
; %bb.288:                              ;   in Loop: Header=BB0_108 Depth=3
	v_or_b32_e32 v35, 0x7e, v0
; %bb.289:                              ;   in Loop: Header=BB0_108 Depth=3
	s_or_b64 exec, exec, s[18:19]
                                        ; implicit-def: $vgpr20
.LBB0_290:                              ;   in Loop: Header=BB0_108 Depth=3
	s_andn2_saveexec_b64 s[18:19], s[72:73]
; %bb.291:                              ;   in Loop: Header=BB0_108 Depth=3
	v_or_b32_sdwa v35, v20, s37 dst_sel:DWORD dst_unused:UNUSED_PAD src0_sel:BYTE_3 src1_sel:DWORD
; %bb.292:                              ;   in Loop: Header=BB0_108 Depth=3
	s_or_b64 exec, exec, s[18:19]
	v_lshrrev_b32_e32 v0, 16, v22
	v_cmp_ne_u16_sdwa s[72:73], v0, v43 src0_sel:BYTE_0 src1_sel:DWORD
	v_mov_b32_e32 v20, 0
	v_mov_b32_e32 v21, 0
	s_and_saveexec_b64 s[18:19], s[72:73]
	s_cbranch_execz .LBB0_298
; %bb.293:                              ;   in Loop: Header=BB0_108 Depth=3
	v_cmp_ne_u16_sdwa s[74:75], v0, s36 src0_sel:BYTE_0 src1_sel:DWORD
	v_bfrev_b32_e32 v21, 1
	s_and_saveexec_b64 s[72:73], s[74:75]
	s_cbranch_execz .LBB0_297
; %bb.294:                              ;   in Loop: Header=BB0_108 Depth=3
	v_bfe_u32 v6, v22, 16, 7
	v_cmp_ne_u32_e32 vcc, s37, v6
	v_mov_b32_e32 v21, 0x7f800001
	s_and_saveexec_b64 s[74:75], vcc
	s_cbranch_execz .LBB0_296
; %bb.295:                              ;   in Loop: Header=BB0_108 Depth=3
	v_and_b32_e32 v21, 7, v0
	v_lshrrev_b32_e32 v46, 3, v6
	v_cmp_gt_u32_e32 vcc, 8, v6
	v_ffbh_u32_e32 v6, v21
	v_min_u32_e32 v6, 32, v6
	v_subrev_u32_e32 v28, 28, v6
	v_lshlrev_b64 v[28:29], v28, v[0:1]
	v_sub_u32_e32 v6, 29, v6
	v_and_b32_e32 v28, 7, v28
	v_cndmask_b32_e32 v6, v46, v6, vcc
	v_cndmask_b32_e32 v21, v21, v28, vcc
	v_lshlrev_b32_e32 v0, 24, v0
	v_lshlrev_b32_e32 v21, 20, v21
	v_and_b32_e32 v0, 0x80000000, v0
	v_lshl_add_u32 v6, v6, 23, v27
	v_or3_b32 v21, v0, v6, v21
.LBB0_296:                              ;   in Loop: Header=BB0_108 Depth=3
	s_or_b64 exec, exec, s[74:75]
.LBB0_297:                              ;   in Loop: Header=BB0_108 Depth=3
	s_or_b64 exec, exec, s[72:73]
.LBB0_298:                              ;   in Loop: Header=BB0_108 Depth=3
	s_or_b64 exec, exec, s[18:19]
	v_and_b32_sdwa v6, v42, s35 dst_sel:DWORD dst_unused:UNUSED_PAD src0_sel:WORD_1 src1_sel:DWORD
	v_lshrrev_b32_e32 v0, 16, v42
	v_cmp_ne_u16_e32 vcc, 0, v6
	s_and_saveexec_b64 s[18:19], vcc
	s_cbranch_execz .LBB0_304
; %bb.299:                              ;   in Loop: Header=BB0_108 Depth=3
	v_cmp_ne_u16_e32 vcc, s36, v6
	v_bfrev_b32_e32 v20, 1
	s_and_saveexec_b64 s[72:73], vcc
	s_cbranch_execz .LBB0_303
; %bb.300:                              ;   in Loop: Header=BB0_108 Depth=3
	v_bfe_u32 v6, v42, 16, 7
	v_cmp_ne_u32_e32 vcc, s37, v6
	v_mov_b32_e32 v20, 0x7f800001
	s_and_saveexec_b64 s[74:75], vcc
	s_cbranch_execz .LBB0_302
; %bb.301:                              ;   in Loop: Header=BB0_108 Depth=3
	v_and_b32_e32 v20, 7, v0
	v_lshrrev_b32_e32 v46, 3, v6
	v_cmp_gt_u32_e32 vcc, 8, v6
	v_ffbh_u32_e32 v6, v20
	v_min_u32_e32 v6, 32, v6
	v_subrev_u32_e32 v28, 28, v6
	v_lshlrev_b64 v[28:29], v28, v[0:1]
	v_sub_u32_e32 v0, 29, v6
	v_and_b32_e32 v6, 7, v28
	v_cndmask_b32_e32 v0, v46, v0, vcc
	v_cndmask_b32_e32 v6, v20, v6, vcc
	v_lshlrev_b32_e32 v20, 8, v42
	v_lshlrev_b32_e32 v6, 20, v6
	v_and_b32_e32 v20, 0x80000000, v20
	v_lshl_add_u32 v0, v0, 23, v27
	v_or3_b32 v20, v20, v0, v6
.LBB0_302:                              ;   in Loop: Header=BB0_108 Depth=3
	s_or_b64 exec, exec, s[74:75]
.LBB0_303:                              ;   in Loop: Header=BB0_108 Depth=3
	s_or_b64 exec, exec, s[72:73]
.LBB0_304:                              ;   in Loop: Header=BB0_108 Depth=3
	s_or_b64 exec, exec, s[18:19]
	v_mul_f32_e32 v20, v21, v20
	v_and_b32_e32 v28, 0x7f800000, v20
	v_mov_b32_e32 v29, v43
	v_cmp_ne_u64_e32 vcc, s[46:47], v[28:29]
                                        ; implicit-def: $vgpr28
	s_and_saveexec_b64 s[18:19], vcc
	s_xor_b64 s[72:73], exec, s[18:19]
	s_cbranch_execz .LBB0_318
; %bb.305:                              ;   in Loop: Header=BB0_108 Depth=3
	v_and_b32_e32 v28, 0x7fffffff, v20
	v_mov_b32_e32 v29, v43
	v_cmp_gt_u64_e32 vcc, s[56:57], v[28:29]
	v_and_b32_sdwa v0, v20, s36 dst_sel:DWORD dst_unused:UNUSED_PAD src0_sel:BYTE_3 src1_sel:DWORD
                                        ; implicit-def: $vgpr28
	s_and_saveexec_b64 s[18:19], vcc
	s_xor_b64 s[74:75], exec, s[18:19]
	s_cbranch_execz .LBB0_315
; %bb.306:                              ;   in Loop: Header=BB0_108 Depth=3
	v_mov_b32_e32 v28, 0
	v_cmp_ne_u32_e32 vcc, 0, v20
	s_and_saveexec_b64 s[76:77], vcc
	s_cbranch_execz .LBB0_314
; %bb.307:                              ;   in Loop: Header=BB0_108 Depth=3
	v_bfe_u32 v46, v20, 23, 8
	v_cmp_gt_u32_e64 s[18:19], s38, v46
	v_sub_u32_e32 v6, 0x79, v46
	v_cmp_eq_u32_e32 vcc, 0, v46
	v_cndmask_b32_e64 v6, 0, v6, s[18:19]
	v_cndmask_b32_e32 v6, v6, v5, vcc
	v_and_b32_e32 v21, 0x7fffff, v20
	v_add_u32_e32 v28, 20, v6
	v_or_b32_e32 v20, 0x800000, v21
	v_lshlrev_b64 v[28:29], v28, -1
	v_cndmask_b32_e32 v20, v20, v21, vcc
	v_mov_b32_e32 v21, v43
	v_add_u32_e32 v47, 19, v6
	v_bfi_b32 v28, v28, 0, v20
	v_lshlrev_b64 v[58:59], v47, 1
	v_lshrrev_b64 v[20:21], v6, v[20:21]
	v_bfi_b32 v29, v29, 0, 0
	v_cmp_eq_u64_e64 s[18:19], v[28:29], v[58:59]
	v_mov_b32_e32 v29, v21
	v_mov_b32_e32 v28, v20
	s_and_saveexec_b64 s[78:79], s[18:19]
; %bb.308:                              ;   in Loop: Header=BB0_108 Depth=3
	v_bfe_u32 v21, v20, 20, 1
	v_add_co_u32_e64 v21, s[18:19], v20, v21
	v_add_co_u32_e64 v28, s[18:19], -1, v21
; %bb.309:                              ;   in Loop: Header=BB0_108 Depth=3
	s_or_b64 exec, exec, s[78:79]
	v_add_u32_e32 v21, 0xffffff81, v46
	v_cndmask_b32_e32 v21, v21, v8, vcc
	v_lshrrev_b32_e32 v29, 23, v20
	v_add3_u32 v29, v6, v21, v29
	v_add_u32_e32 v6, 6, v29
	v_and_b32_e32 v21, 0xfffff, v28
	v_add_u32_e32 v20, v21, v20
	v_mov_b32_e32 v21, v43
	v_cmp_ne_u32_e32 vcc, 0, v6
                                        ; implicit-def: $vgpr28
	s_and_saveexec_b64 s[18:19], vcc
	s_xor_b64 s[18:19], exec, s[18:19]
; %bb.310:                              ;   in Loop: Header=BB0_108 Depth=3
	v_cmp_lt_u64_e32 vcc, s[58:59], v[20:21]
	v_add_u32_e32 v28, 7, v29
	v_cndmask_b32_e32 v28, v6, v28, vcc
	v_cndmask_b32_e64 v6, 0, 1, vcc
	v_lshrrev_b64 v[20:21], v6, v[20:21]
; %bb.311:                              ;   in Loop: Header=BB0_108 Depth=3
	s_andn2_saveexec_b64 s[18:19], s[18:19]
; %bb.312:                              ;   in Loop: Header=BB0_108 Depth=3
	v_bfe_u32 v28, v20, 23, 1
; %bb.313:                              ;   in Loop: Header=BB0_108 Depth=3
	s_or_b64 exec, exec, s[18:19]
	v_lshrrev_b64 v[20:21], 20, v[20:21]
	v_cmp_gt_i32_e32 vcc, 16, v28
	v_cndmask_b32_e32 v21, 0, v21, vcc
	v_cndmask_b32_e32 v20, 7, v20, vcc
	v_min_i32_e32 v6, 15, v28
	v_cmp_eq_u64_e64 s[18:19], 0, v[20:21]
	v_lshlrev_b32_e32 v6, 3, v6
	v_cmp_eq_u32_e32 vcc, 0, v28
	v_and_b32_e32 v6, 0xf8, v6
	v_and_or_b32 v6, v20, 7, v6
	s_and_b64 s[18:19], vcc, s[18:19]
	v_cndmask_b32_e64 v6, v6, 0, s[18:19]
	v_or_b32_e32 v28, v6, v0
.LBB0_314:                              ;   in Loop: Header=BB0_108 Depth=3
	s_or_b64 exec, exec, s[76:77]
                                        ; implicit-def: $vgpr0
.LBB0_315:                              ;   in Loop: Header=BB0_108 Depth=3
	s_andn2_saveexec_b64 s[18:19], s[74:75]
; %bb.316:                              ;   in Loop: Header=BB0_108 Depth=3
	v_or_b32_e32 v28, 0x7e, v0
; %bb.317:                              ;   in Loop: Header=BB0_108 Depth=3
	s_or_b64 exec, exec, s[18:19]
                                        ; implicit-def: $vgpr20
.LBB0_318:                              ;   in Loop: Header=BB0_108 Depth=3
	s_andn2_saveexec_b64 s[18:19], s[72:73]
; %bb.319:                              ;   in Loop: Header=BB0_108 Depth=3
	v_or_b32_sdwa v28, v20, s37 dst_sel:DWORD dst_unused:UNUSED_PAD src0_sel:BYTE_3 src1_sel:DWORD
; %bb.320:                              ;   in Loop: Header=BB0_108 Depth=3
	s_or_b64 exec, exec, s[18:19]
	v_and_b32_e32 v20, 0xff000000, v22
	v_mov_b32_e32 v21, v43
	v_cmp_ne_u64_e32 vcc, 0, v[20:21]
	v_mov_b32_e32 v20, 0
	v_mov_b32_e32 v21, 0
	s_and_saveexec_b64 s[18:19], vcc
	s_cbranch_execz .LBB0_326
; %bb.321:                              ;   in Loop: Header=BB0_108 Depth=3
	v_lshrrev_b32_e32 v0, 24, v22
	v_cmp_ne_u32_e32 vcc, s36, v0
	v_bfrev_b32_e32 v21, 1
	s_and_saveexec_b64 s[72:73], vcc
	s_cbranch_execz .LBB0_325
; %bb.322:                              ;   in Loop: Header=BB0_108 Depth=3
	v_bfe_u32 v6, v22, 24, 7
	v_cmp_ne_u32_e32 vcc, s37, v6
	v_mov_b32_e32 v21, 0x7f800001
	s_and_saveexec_b64 s[74:75], vcc
	s_cbranch_execz .LBB0_324
; %bb.323:                              ;   in Loop: Header=BB0_108 Depth=3
	v_and_b32_e32 v29, 7, v0
	v_lshrrev_b32_e32 v46, 3, v6
	v_cmp_gt_u32_e32 vcc, 8, v6
	v_ffbh_u32_e32 v6, v29
	v_min_u32_e32 v6, 32, v6
	v_subrev_u32_e32 v21, 28, v6
	v_lshlrev_b64 v[21:22], v21, v[0:1]
	v_sub_u32_e32 v6, 29, v6
	v_and_b32_e32 v21, 7, v21
	v_cndmask_b32_e32 v6, v46, v6, vcc
	v_cndmask_b32_e32 v21, v29, v21, vcc
	v_lshlrev_b32_e32 v0, 24, v0
	v_lshlrev_b32_e32 v21, 20, v21
	v_and_b32_e32 v0, 0x80000000, v0
	v_lshl_add_u32 v6, v6, 23, v27
	v_or3_b32 v21, v0, v6, v21
.LBB0_324:                              ;   in Loop: Header=BB0_108 Depth=3
	s_or_b64 exec, exec, s[74:75]
.LBB0_325:                              ;   in Loop: Header=BB0_108 Depth=3
	s_or_b64 exec, exec, s[72:73]
.LBB0_326:                              ;   in Loop: Header=BB0_108 Depth=3
	s_or_b64 exec, exec, s[18:19]
	v_cmp_lt_u32_e32 vcc, s39, v42
	s_and_saveexec_b64 s[18:19], vcc
	s_cbranch_execz .LBB0_332
; %bb.327:                              ;   in Loop: Header=BB0_108 Depth=3
	v_lshrrev_b32_e32 v0, 24, v42
	v_cmp_ne_u32_sdwa s[74:75], v42, s36 src0_sel:BYTE_3 src1_sel:DWORD
	v_bfrev_b32_e32 v20, 1
	s_and_saveexec_b64 s[72:73], s[74:75]
	s_cbranch_execz .LBB0_331
; %bb.328:                              ;   in Loop: Header=BB0_108 Depth=3
	v_bfe_u32 v6, v42, 24, 7
	v_cmp_ne_u32_e32 vcc, s37, v6
	v_mov_b32_e32 v20, 0x7f800001
	s_and_saveexec_b64 s[74:75], vcc
	s_cbranch_execz .LBB0_330
; %bb.329:                              ;   in Loop: Header=BB0_108 Depth=3
	v_and_b32_e32 v20, 7, v0
	v_lshrrev_b32_e32 v22, 3, v6
	v_cmp_gt_u32_e32 vcc, 8, v6
	v_ffbh_u32_e32 v6, v20
	v_min_u32_e32 v6, 32, v6
	v_subrev_u32_e32 v29, 28, v6
	v_lshlrev_b64 v[46:47], v29, v[0:1]
	v_sub_u32_e32 v0, 29, v6
	v_and_b32_e32 v6, 7, v46
	v_cndmask_b32_e32 v0, v22, v0, vcc
	v_cndmask_b32_e32 v6, v20, v6, vcc
	v_lshlrev_b32_sdwa v20, v9, v42 dst_sel:DWORD dst_unused:UNUSED_PAD src0_sel:DWORD src1_sel:BYTE_3
	v_lshlrev_b32_e32 v6, 20, v6
	v_and_b32_e32 v20, 0x80000000, v20
	v_lshl_add_u32 v0, v0, 23, v27
	v_or3_b32 v20, v20, v0, v6
.LBB0_330:                              ;   in Loop: Header=BB0_108 Depth=3
	s_or_b64 exec, exec, s[74:75]
.LBB0_331:                              ;   in Loop: Header=BB0_108 Depth=3
	s_or_b64 exec, exec, s[72:73]
.LBB0_332:                              ;   in Loop: Header=BB0_108 Depth=3
	s_or_b64 exec, exec, s[18:19]
	v_mul_f32_e32 v21, v21, v20
	v_and_b32_e32 v42, 0x7f800000, v21
	v_cmp_ne_u64_e32 vcc, s[46:47], v[42:43]
                                        ; implicit-def: $vgpr20
	s_and_saveexec_b64 s[18:19], vcc
	s_xor_b64 s[72:73], exec, s[18:19]
	s_cbranch_execz .LBB0_346
; %bb.333:                              ;   in Loop: Header=BB0_108 Depth=3
	v_and_b32_e32 v42, 0x7fffffff, v21
	v_cmp_gt_u64_e32 vcc, s[56:57], v[42:43]
	v_and_b32_sdwa v0, v21, s36 dst_sel:DWORD dst_unused:UNUSED_PAD src0_sel:BYTE_3 src1_sel:DWORD
                                        ; implicit-def: $vgpr20
	s_and_saveexec_b64 s[18:19], vcc
	s_xor_b64 s[74:75], exec, s[18:19]
	s_cbranch_execz .LBB0_343
; %bb.334:                              ;   in Loop: Header=BB0_108 Depth=3
	v_mov_b32_e32 v20, 0
	v_cmp_ne_u32_e32 vcc, 0, v21
	s_and_saveexec_b64 s[76:77], vcc
	s_cbranch_execz .LBB0_342
; %bb.335:                              ;   in Loop: Header=BB0_108 Depth=3
	v_bfe_u32 v29, v21, 23, 8
	v_cmp_gt_u32_e64 s[18:19], s38, v29
	v_sub_u32_e32 v6, 0x79, v29
	v_and_b32_e32 v20, 0x7fffff, v21
	v_cmp_eq_u32_e32 vcc, 0, v29
	v_cndmask_b32_e64 v6, 0, v6, s[18:19]
	v_or_b32_e32 v21, 0x800000, v20
	v_cndmask_b32_e32 v6, v6, v5, vcc
	v_cndmask_b32_e32 v42, v21, v20, vcc
	v_add_u32_e32 v20, 20, v6
	v_lshlrev_b64 v[20:21], v20, -1
	v_add_u32_e32 v22, 19, v6
	v_lshlrev_b64 v[46:47], v22, 1
	v_bfi_b32 v21, v21, 0, 0
	v_bfi_b32 v20, v20, 0, v42
	v_cmp_eq_u64_e64 s[18:19], v[20:21], v[46:47]
	v_lshrrev_b64 v[20:21], v6, v[42:43]
	v_mov_b32_e32 v22, v21
	v_mov_b32_e32 v21, v20
	s_and_saveexec_b64 s[78:79], s[18:19]
; %bb.336:                              ;   in Loop: Header=BB0_108 Depth=3
	v_bfe_u32 v21, v20, 20, 1
	v_add_co_u32_e64 v21, s[18:19], v20, v21
	v_add_co_u32_e64 v21, s[18:19], -1, v21
; %bb.337:                              ;   in Loop: Header=BB0_108 Depth=3
	s_or_b64 exec, exec, s[78:79]
	v_add_u32_e32 v22, 0xffffff81, v29
	v_cndmask_b32_e32 v22, v22, v8, vcc
	v_lshrrev_b32_e32 v29, 23, v20
	v_add3_u32 v29, v6, v22, v29
	v_add_u32_e32 v6, 6, v29
	v_and_b32_e32 v21, 0xfffff, v21
	v_add_u32_e32 v42, v21, v20
	v_cmp_ne_u32_e32 vcc, 0, v6
                                        ; implicit-def: $vgpr20_vgpr21
                                        ; implicit-def: $vgpr22
	s_and_saveexec_b64 s[18:19], vcc
	s_xor_b64 s[18:19], exec, s[18:19]
; %bb.338:                              ;   in Loop: Header=BB0_108 Depth=3
	v_cmp_lt_u64_e32 vcc, s[58:59], v[42:43]
	v_add_u32_e32 v20, 7, v29
	v_cndmask_b32_e32 v22, v6, v20, vcc
	v_cndmask_b32_e64 v6, 0, 1, vcc
	v_lshrrev_b64 v[20:21], v6, v[42:43]
; %bb.339:                              ;   in Loop: Header=BB0_108 Depth=3
	s_andn2_saveexec_b64 s[18:19], s[18:19]
; %bb.340:                              ;   in Loop: Header=BB0_108 Depth=3
	v_mov_b32_e32 v20, v42
	v_bfe_u32 v22, v42, 23, 1
	v_mov_b32_e32 v21, v43
; %bb.341:                              ;   in Loop: Header=BB0_108 Depth=3
	s_or_b64 exec, exec, s[18:19]
	v_lshrrev_b64 v[20:21], 20, v[20:21]
	v_cmp_gt_i32_e32 vcc, 16, v22
	v_cndmask_b32_e32 v21, 0, v21, vcc
	v_cndmask_b32_e32 v20, 7, v20, vcc
	v_min_i32_e32 v6, 15, v22
	v_cmp_eq_u64_e64 s[18:19], 0, v[20:21]
	v_lshlrev_b32_e32 v6, 3, v6
	v_cmp_eq_u32_e32 vcc, 0, v22
	v_and_b32_e32 v6, 0xf8, v6
	v_and_or_b32 v6, v20, 7, v6
	s_and_b64 s[18:19], vcc, s[18:19]
	v_cndmask_b32_e64 v6, v6, 0, s[18:19]
	v_or_b32_e32 v20, v6, v0
.LBB0_342:                              ;   in Loop: Header=BB0_108 Depth=3
	s_or_b64 exec, exec, s[76:77]
                                        ; implicit-def: $vgpr0
.LBB0_343:                              ;   in Loop: Header=BB0_108 Depth=3
	s_andn2_saveexec_b64 s[18:19], s[74:75]
; %bb.344:                              ;   in Loop: Header=BB0_108 Depth=3
	v_or_b32_e32 v20, 0x7e, v0
; %bb.345:                              ;   in Loop: Header=BB0_108 Depth=3
	s_or_b64 exec, exec, s[18:19]
                                        ; implicit-def: $vgpr21
.LBB0_346:                              ;   in Loop: Header=BB0_108 Depth=3
	s_andn2_saveexec_b64 s[18:19], s[72:73]
	s_cbranch_execz .LBB0_107
; %bb.347:                              ;   in Loop: Header=BB0_108 Depth=3
	v_or_b32_sdwa v20, v21, s37 dst_sel:DWORD dst_unused:UNUSED_PAD src0_sel:BYTE_3 src1_sel:DWORD
	s_branch .LBB0_107
.LBB0_348:                              ;   in Loop: Header=BB0_70 Depth=2
	s_or_b64 exec, exec, s[60:61]
	s_and_saveexec_b64 s[18:19], s[10:11]
	s_cbranch_execz .LBB0_361
.LBB0_349:                              ;   in Loop: Header=BB0_70 Depth=2
	s_and_saveexec_b64 s[60:61], s[40:41]
	s_xor_b64 s[60:61], exec, s[60:61]
	s_cbranch_execz .LBB0_370
; %bb.350:                              ;   in Loop: Header=BB0_70 Depth=2
	s_and_saveexec_b64 s[62:63], s[12:13]
	s_cbranch_execz .LBB0_369
; %bb.351:                              ;   in Loop: Header=BB0_70 Depth=2
	s_mov_b64 s[74:75], exec
	s_waitcnt vmcnt(0) lgkmcnt(0)
	v_mbcnt_lo_u32_b32 v0, s74, 0
	v_mbcnt_hi_u32_b32 v0, s75, v0
	v_cmp_eq_u32_e32 vcc, 0, v0
	buffer_wbinvl1_vol
	s_and_saveexec_b64 s[72:73], vcc
	s_cbranch_execz .LBB0_353
; %bb.352:                              ;   in Loop: Header=BB0_70 Depth=2
	s_bcnt1_i32_b64 s26, s[74:75]
	v_mov_b32_e32 v42, s26
	ds_add_u64 v0, v[42:43]
	s_trap 2
.LBB0_353:                              ;   in Loop: Header=BB0_70 Depth=2
	s_or_b64 exec, exec, s[72:73]
	s_trap 2
	ds_read_b64 v[6:7], v0
	s_waitcnt lgkmcnt(0)
	buffer_load_dword v0, off, s[0:3], s32 offset:96 ; 4-byte Folded Reload
	s_waitcnt vmcnt(0)
	v_add_co_u32_e32 v2, vcc, v2, v0
	v_addc_co_u32_e32 v3, vcc, 0, v3, vcc
	v_cmp_lt_u64_e32 vcc, v[6:7], v[2:3]
	s_and_saveexec_b64 s[72:73], vcc
	s_cbranch_execz .LBB0_368
; %bb.354:                              ;   in Loop: Header=BB0_70 Depth=2
	s_mov_b32 s26, 0
	s_mov_b64 s[74:75], 0
                                        ; implicit-def: $sgpr76_sgpr77
                                        ; implicit-def: $sgpr78_sgpr79
	s_branch .LBB0_356
.LBB0_355:                              ;   in Loop: Header=BB0_356 Depth=3
	s_or_b64 exec, exec, s[90:91]
	s_and_b64 s[88:89], exec, s[92:93]
	s_or_b64 s[74:75], s[88:89], s[74:75]
	s_andn2_b64 s[76:77], s[76:77], exec
	s_and_b64 s[88:89], s[78:79], exec
	s_or_b64 s[76:77], s[76:77], s[88:89]
	s_andn2_b64 exec, exec, s[74:75]
	s_cbranch_execz .LBB0_366
.LBB0_356:                              ;   Parent Loop BB0_21 Depth=1
                                        ;     Parent Loop BB0_70 Depth=2
                                        ; =>    This Inner Loop Header: Depth=3
	s_add_i32 s26, s26, 1
	s_cmpk_lg_i32 s26, 0x2710
	s_cselect_b64 s[88:89], -1, 0
	s_and_b64 vcc, exec, s[88:89]
	s_cbranch_vccz .LBB0_358
; %bb.357:                              ;   in Loop: Header=BB0_356 Depth=3
	s_mov_b64 s[92:93], -1
	s_or_b64 s[78:79], s[78:79], exec
	s_and_saveexec_b64 s[90:91], s[88:89]
	s_cbranch_execz .LBB0_355
	s_branch .LBB0_359
.LBB0_358:                              ;   in Loop: Header=BB0_356 Depth=3
	s_trap 2
	ds_read_b64 v[6:7], v0
	s_andn2_b64 s[88:89], s[88:89], exec
	s_mov_b32 s26, 0
	s_waitcnt lgkmcnt(0)
	flat_load_dword v0, v[6:7] glc
	s_waitcnt vmcnt(0) lgkmcnt(0)
	buffer_wbinvl1_vol
	v_cmp_eq_u32_e32 vcc, 0, v0
	s_and_b64 s[90:91], vcc, exec
	s_or_b64 s[88:89], s[88:89], s[90:91]
	s_mov_b64 s[92:93], -1
	s_or_b64 s[78:79], s[78:79], exec
	s_and_saveexec_b64 s[90:91], s[88:89]
	s_cbranch_execz .LBB0_355
.LBB0_359:                              ;   in Loop: Header=BB0_356 Depth=3
	s_sleep 1
	s_trap 2
	ds_read_b64 v[6:7], v0
	s_waitcnt lgkmcnt(0)
	s_andn2_b64 s[78:79], s[78:79], exec
	v_cmp_ge_u64_e32 vcc, v[6:7], v[2:3]
	s_orn2_b64 s[92:93], vcc, exec
	s_branch .LBB0_355
.LBB0_360:                              ;   in Loop: Header=BB0_70 Depth=2
	s_or_b64 exec, exec, s[62:63]
	s_or_b64 exec, exec, s[60:61]
	s_and_saveexec_b64 s[18:19], s[10:11]
	s_cbranch_execnz .LBB0_349
.LBB0_361:                              ;   in Loop: Header=BB0_70 Depth=2
	s_or_b64 exec, exec, s[18:19]
	s_and_saveexec_b64 s[18:19], s[14:15]
	s_cbranch_execz .LBB0_363
.LBB0_362:                              ;   in Loop: Header=BB0_70 Depth=2
	buffer_load_dword v6, off, s[0:3], s32 offset:68 ; 4-byte Folded Reload
	buffer_load_dword v7, off, s[0:3], s32 offset:72 ; 4-byte Folded Reload
	v_add_co_u32_e32 v48, vcc, 1, v48
	v_addc_co_u32_e32 v49, vcc, 0, v49, vcc
	s_waitcnt vmcnt(0)
	flat_store_dwordx2 v[6:7], v[48:49]
.LBB0_363:                              ;   in Loop: Header=BB0_70 Depth=2
	s_or_b64 exec, exec, s[18:19]
	v_and_b32_e32 v42, 0x7ffffff8, v56
	v_cmp_eq_u64_e32 vcc, s[44:45], v[42:43]
	v_cmp_gt_i32_e64 s[18:19], s34, v60
	s_and_b64 s[18:19], vcc, s[18:19]
	s_and_saveexec_b64 s[60:61], s[18:19]
	s_cbranch_execz .LBB0_69
; %bb.364:                              ;   in Loop: Header=BB0_70 Depth=2
	s_waitcnt vmcnt(0) lgkmcnt(0)
	v_and_b32_e32 v0, 7, v50
	v_mul_lo_u32 v6, s34, v0
	v_ashrrev_i32_e32 v61, 31, v60
	v_lshlrev_b64 v[10:11], 4, v[60:61]
	v_mov_b32_e32 v18, v43
	v_ashrrev_i32_e32 v7, 31, v6
	v_lshlrev_b64 v[6:7], 4, v[6:7]
	s_mov_b64 s[62:63], 0
	v_add_co_u32_e32 v0, vcc, v10, v6
	v_addc_co_u32_e32 v6, vcc, v11, v7, vcc
	v_add_co_u32_e32 v22, vcc, v38, v0
	v_addc_co_u32_e32 v23, vcc, v39, v6, vcc
.LBB0_365:                              ;   Parent Loop BB0_21 Depth=1
                                        ;     Parent Loop BB0_70 Depth=2
                                        ; =>    This Inner Loop Header: Depth=3
	v_mov_b32_e32 v20, v18
	v_mov_b32_e32 v21, v19
	v_add_u32_e32 v60, v60, v1
	global_store_dwordx4 v[22:23], v[18:21], off
	v_add_co_u32_e32 v22, vcc, v22, v44
	v_cmp_le_i32_e64 s[18:19], s34, v60
	s_or_b64 s[62:63], s[18:19], s[62:63]
	v_addc_co_u32_e32 v23, vcc, v23, v45, vcc
	s_andn2_b64 exec, exec, s[62:63]
	s_cbranch_execnz .LBB0_365
	s_branch .LBB0_69
.LBB0_366:                              ;   in Loop: Header=BB0_70 Depth=2
	s_or_b64 exec, exec, s[74:75]
	s_and_saveexec_b64 s[74:75], s[76:77]
	s_xor_b64 s[74:75], exec, s[74:75]
	s_cbranch_execz .LBB0_368
; %bb.367:                              ;   in Loop: Header=BB0_70 Depth=2
	v_mov_b32_e32 v0, 1
	ds_write_b32 v0, v0
	s_trap 2
.LBB0_368:                              ;   in Loop: Header=BB0_70 Depth=2
	s_or_b64 exec, exec, s[72:73]
	;;#ASMSTART
	s_wakeup
	;;#ASMEND
.LBB0_369:                              ;   in Loop: Header=BB0_70 Depth=2
	s_or_b64 exec, exec, s[62:63]
.LBB0_370:                              ;   in Loop: Header=BB0_70 Depth=2
	s_andn2_saveexec_b64 s[60:61], s[60:61]
	s_cbranch_execz .LBB0_372
; %bb.371:                              ;   in Loop: Header=BB0_70 Depth=2
	s_waitcnt vmcnt(0) lgkmcnt(0)
	buffer_wbinvl1_vol
	s_barrier
.LBB0_372:                              ;   in Loop: Header=BB0_70 Depth=2
	s_or_b64 exec, exec, s[60:61]
	s_or_b64 exec, exec, s[18:19]
	s_and_saveexec_b64 s[18:19], s[14:15]
	s_cbranch_execnz .LBB0_362
	s_branch .LBB0_363
.LBB0_373:                              ;   in Loop: Header=BB0_21 Depth=1
	buffer_load_dword v61, off, s[0:3], s32 offset:160 ; 4-byte Folded Reload
	buffer_load_dword v62, off, s[0:3], s32 offset:164 ; 4-byte Folded Reload
	;; [unrolled: 1-line block ×5, first 2 shown]
.LBB0_374:                              ;   in Loop: Header=BB0_21 Depth=1
	v_mov_b32_e32 v22, v56
	v_mov_b32_e32 v23, v57
	buffer_load_dword v29, off, s[0:3], s32 offset:108 ; 4-byte Folded Reload
	buffer_load_dword v30, off, s[0:3], s32 offset:112 ; 4-byte Folded Reload
	s_and_saveexec_b64 s[18:19], s[16:17]
	s_cbranch_execz .LBB0_636
; %bb.375:                              ;   in Loop: Header=BB0_21 Depth=1
	s_waitcnt vmcnt(0) lgkmcnt(0)
	flat_load_dword v0, v[24:25]
	buffer_load_dword v18, off, s[0:3], s32 offset:168 ; 4-byte Folded Reload
	buffer_load_dword v19, off, s[0:3], s32 offset:172 ; 4-byte Folded Reload
	buffer_load_dword v20, off, s[0:3], s32 offset:176 ; 4-byte Folded Reload
	buffer_load_dword v21, off, s[0:3], s32 offset:180 ; 4-byte Folded Reload
	buffer_load_dword v11, off, s[0:3], s32 offset:64 ; 4-byte Folded Reload
	buffer_load_dword v12, off, s[0:3], s32 offset:60 ; 4-byte Folded Reload
	v_add_u32_e32 v51, 1, v36
	s_mov_b64 s[60:61], 0
	v_mov_b32_e32 v58, v4
	s_waitcnt vmcnt(0) lgkmcnt(0)
	v_ashrrev_i32_e32 v10, 31, v0
	v_mov_b32_e32 v6, v20
	v_mov_b32_e32 v7, v21
	v_add_co_u32_e32 v6, vcc, v6, v29
	v_addc_co_u32_e32 v7, vcc, v7, v30, vcc
	v_mul_lo_u32 v11, v11, v0
	v_mul_lo_u32 v10, v12, v10
	v_mad_u64_u32 v[6:7], s[16:17], v12, v0, v[6:7]
	v_add3_u32 v0, v11, v7, v10
	v_lshlrev_b32_e32 v7, 3, v4
	v_add_co_u32_e32 v12, vcc, v6, v7
	buffer_load_dword v6, off, s[0:3], s32 offset:184 ; 4-byte Folded Reload
	s_waitcnt vmcnt(0)
	v_addc_co_u32_e32 v28, vcc, v0, v6, vcc
	buffer_load_dword v0, off, s[0:3], s32 offset:196 ; 4-byte Folded Reload
	s_waitcnt vmcnt(0)
	v_add_co_u32_e32 v56, vcc, v0, v29
	buffer_load_dword v0, off, s[0:3], s32 offset:200 ; 4-byte Folded Reload
	buffer_load_dword v10, off, s[0:3], s32 offset:76 ; 4-byte Folded Reload
	;; [unrolled: 1-line block ×3, first 2 shown]
	s_waitcnt vmcnt(2)
	v_addc_co_u32_e32 v57, vcc, v0, v30, vcc
	v_and_b32_e32 v0, 7, v36
	v_mul_lo_u32 v6, v0, s34
	v_ashrrev_i32_e32 v7, 31, v6
	v_lshlrev_b64 v[6:7], 4, v[6:7]
	s_waitcnt vmcnt(1)
	v_add_co_u32_e32 v29, vcc, v10, v6
	s_waitcnt vmcnt(0)
	v_addc_co_u32_e32 v50, vcc, v11, v7, vcc
	s_branch .LBB0_377
.LBB0_376:                              ;   in Loop: Header=BB0_377 Depth=2
	v_add_co_u32_e32 v12, vcc, v12, v13
	v_addc_co_u32_e32 v28, vcc, 0, v28, vcc
	v_add_co_u32_e32 v56, vcc, v56, v13
	v_addc_co_u32_e32 v57, vcc, 0, v57, vcc
	v_sub_u32_e32 v26, v26, v13
	v_cmp_gt_i32_e32 vcc, 1, v26
	s_or_b64 s[60:61], vcc, s[60:61]
	v_add_u32_e32 v58, v58, v1
	s_andn2_b64 exec, exec, s[60:61]
	s_cbranch_execz .LBB0_635
.LBB0_377:                              ;   Parent Loop BB0_21 Depth=1
                                        ; =>  This Loop Header: Depth=2
                                        ;       Child Loop BB0_385 Depth 3
	v_and_b32_e32 v18, -4, v12
	v_mov_b32_e32 v19, v28
	global_load_dword v0, v[18:19], off glc slc
	v_min_u32_e32 v6, 8, v26
	v_and_b32_e32 v7, 3, v12
	v_add_u32_e32 v42, v7, v6
	v_cmp_lt_u32_e32 vcc, 4, v42
	v_mov_b32_e32 v34, 0
	v_mov_b32_e32 v35, 0
	s_and_saveexec_b64 s[16:17], vcc
	s_cbranch_execz .LBB0_379
; %bb.378:                              ;   in Loop: Header=BB0_377 Depth=2
	global_load_dword v35, v[18:19], off offset:4 glc slc
.LBB0_379:                              ;   in Loop: Header=BB0_377 Depth=2
	s_or_b64 exec, exec, s[16:17]
	v_cmp_lt_u64_e32 vcc, 8, v[42:43]
	s_and_saveexec_b64 s[16:17], vcc
	s_cbranch_execz .LBB0_381
; %bb.380:                              ;   in Loop: Header=BB0_377 Depth=2
	global_load_dword v34, v[18:19], off offset:8 glc slc
.LBB0_381:                              ;   in Loop: Header=BB0_377 Depth=2
	s_or_b64 exec, exec, s[16:17]
	v_ashrrev_i32_e32 v59, 31, v58
	v_lshlrev_b64 v[6:7], 4, v[58:59]
	v_add_co_u32_e32 v32, vcc, v29, v6
	v_addc_co_u32_e32 v33, vcc, v50, v7, vcc
	global_load_dwordx4 v[18:21], v[32:33], off glc slc
	v_cmp_eq_u32_e32 vcc, 0, v40
	s_and_saveexec_b64 s[62:63], vcc
	s_cbranch_execz .LBB0_393
; %bb.382:                              ;   in Loop: Header=BB0_377 Depth=2
	s_waitcnt vmcnt(0)
	v_cmp_ne_u32_e32 vcc, v51, v19
	v_cmp_ne_u32_e64 s[16:17], v51, v21
	s_or_b64 s[16:17], vcc, s[16:17]
	v_mov_b32_e32 v40, 0
	s_and_saveexec_b64 s[72:73], s[16:17]
	s_cbranch_execz .LBB0_392
; %bb.383:                              ;   in Loop: Header=BB0_377 Depth=2
	s_mov_b32 s26, 1
	s_mov_b64 s[76:77], 0
                                        ; implicit-def: $sgpr74_sgpr75
                                        ; implicit-def: $sgpr78_sgpr79
	s_branch .LBB0_385
.LBB0_384:                              ;   in Loop: Header=BB0_385 Depth=3
	s_or_b64 exec, exec, s[90:91]
	s_and_b64 s[16:17], exec, s[16:17]
	s_or_b64 s[76:77], s[16:17], s[76:77]
	s_andn2_b64 s[16:17], s[74:75], exec
	s_and_b64 s[74:75], s[78:79], exec
	s_or_b64 s[74:75], s[16:17], s[74:75]
	s_andn2_b64 exec, exec, s[76:77]
	s_cbranch_execz .LBB0_389
.LBB0_385:                              ;   Parent Loop BB0_21 Depth=1
                                        ;     Parent Loop BB0_377 Depth=2
                                        ; =>    This Inner Loop Header: Depth=3
	global_load_dwordx4 v[18:21], v[32:33], off glc slc
	s_add_i32 s26, s26, 1
	s_mov_b64 s[16:17], -1
	s_cmpk_lg_i32 s26, 0x2710
	s_mov_b64 s[88:89], -1
                                        ; implicit-def: $vgpr7
	s_cbranch_scc0 .LBB0_387
; %bb.386:                              ;   in Loop: Header=BB0_385 Depth=3
	s_or_b64 s[78:79], s[78:79], exec
	s_and_saveexec_b64 s[90:91], s[88:89]
	s_cbranch_execz .LBB0_384
	s_branch .LBB0_388
.LBB0_387:                              ;   in Loop: Header=BB0_385 Depth=3
	s_trap 2
	ds_read_b64 v[6:7], v0
	s_mov_b32 s26, 0
	s_waitcnt vmcnt(0) lgkmcnt(0)
	flat_load_dword v7, v[6:7] glc
	s_waitcnt vmcnt(0) lgkmcnt(0)
	buffer_wbinvl1_vol
	v_cmp_eq_u32_e32 vcc, 0, v7
	s_orn2_b64 s[88:89], vcc, exec
	s_or_b64 s[78:79], s[78:79], exec
	s_and_saveexec_b64 s[90:91], s[88:89]
	s_cbranch_execz .LBB0_384
.LBB0_388:                              ;   in Loop: Header=BB0_385 Depth=3
	s_waitcnt vmcnt(0)
	v_cmp_eq_u32_e32 vcc, v51, v19
	v_cmp_eq_u32_e64 s[16:17], v51, v21
	s_and_b64 s[16:17], vcc, s[16:17]
	s_andn2_b64 s[78:79], s[78:79], exec
	s_orn2_b64 s[16:17], s[16:17], exec
	s_branch .LBB0_384
.LBB0_389:                              ;   in Loop: Header=BB0_377 Depth=2
	s_or_b64 exec, exec, s[76:77]
	v_mov_b32_e32 v40, 0
	s_and_saveexec_b64 s[16:17], s[74:75]
	s_xor_b64 s[16:17], exec, s[16:17]
	s_cbranch_execz .LBB0_391
; %bb.390:                              ;   in Loop: Header=BB0_377 Depth=2
	v_mov_b32_e32 v40, 1
	ds_write_b32 v0, v7
	s_trap 2
.LBB0_391:                              ;   in Loop: Header=BB0_377 Depth=2
	s_or_b64 exec, exec, s[16:17]
.LBB0_392:                              ;   in Loop: Header=BB0_377 Depth=2
	s_or_b64 exec, exec, s[72:73]
.LBB0_393:                              ;   in Loop: Header=BB0_377 Depth=2
	s_or_b64 exec, exec, s[62:63]
	s_waitcnt vmcnt(0)
	v_cmp_ne_u16_sdwa s[62:63], v18, v43 src0_sel:BYTE_0 src1_sel:DWORD
	v_mov_b32_e32 v7, 0
	v_mov_b32_e32 v10, 0
	s_and_saveexec_b64 s[16:17], s[62:63]
	s_cbranch_execz .LBB0_399
; %bb.394:                              ;   in Loop: Header=BB0_377 Depth=2
	v_cmp_ne_u16_sdwa s[72:73], v18, s36 src0_sel:BYTE_0 src1_sel:DWORD
	v_bfrev_b32_e32 v10, 1
	s_and_saveexec_b64 s[62:63], s[72:73]
	s_cbranch_execz .LBB0_398
; %bb.395:                              ;   in Loop: Header=BB0_377 Depth=2
	v_and_b32_e32 v6, 0x7f, v18
	v_cmp_ne_u32_e32 vcc, s37, v6
	v_mov_b32_e32 v10, 0x7f800001
	s_and_saveexec_b64 s[72:73], vcc
	s_cbranch_execz .LBB0_397
; %bb.396:                              ;   in Loop: Header=BB0_377 Depth=2
	v_and_b32_e32 v10, 7, v18
	v_lshrrev_b32_e32 v11, 3, v6
	v_cmp_gt_u32_e32 vcc, 8, v6
	v_ffbh_u32_e32 v6, v10
	v_min_u32_e32 v6, 32, v6
	v_subrev_u32_e32 v10, 28, v6
	v_sub_u32_e32 v6, 29, v6
	v_cndmask_b32_e32 v10, 0, v10, vcc
	v_cndmask_b32_e32 v6, v11, v6, vcc
	v_lshlrev_b64 v[10:11], v10, v[18:19]
	v_lshlrev_b32_e32 v11, 24, v18
	v_lshlrev_b32_e32 v10, 20, v10
	v_and_b32_e32 v10, 0x700000, v10
	v_and_b32_e32 v11, 0x80000000, v11
	v_lshl_add_u32 v6, v6, 23, v27
	v_or3_b32 v10, v11, v6, v10
.LBB0_397:                              ;   in Loop: Header=BB0_377 Depth=2
	s_or_b64 exec, exec, s[72:73]
.LBB0_398:                              ;   in Loop: Header=BB0_377 Depth=2
	s_or_b64 exec, exec, s[62:63]
.LBB0_399:                              ;   in Loop: Header=BB0_377 Depth=2
	s_or_b64 exec, exec, s[16:17]
	v_lshlrev_b32_e32 v33, 3, v12
	v_alignbit_b32 v42, v35, v0, v33
	v_cmp_ne_u16_sdwa s[62:63], v42, v43 src0_sel:BYTE_0 src1_sel:DWORD
	s_and_saveexec_b64 s[16:17], s[62:63]
	s_cbranch_execz .LBB0_405
; %bb.400:                              ;   in Loop: Header=BB0_377 Depth=2
	v_cmp_ne_u16_sdwa s[72:73], v42, s36 src0_sel:BYTE_0 src1_sel:DWORD
	v_bfrev_b32_e32 v7, 1
	s_and_saveexec_b64 s[62:63], s[72:73]
	s_cbranch_execz .LBB0_404
; %bb.401:                              ;   in Loop: Header=BB0_377 Depth=2
	v_and_b32_e32 v0, 0x7f, v42
	v_cmp_ne_u32_e32 vcc, s37, v0
	v_mov_b32_e32 v7, 0x7f800001
	s_and_saveexec_b64 s[72:73], vcc
	s_cbranch_execz .LBB0_403
; %bb.402:                              ;   in Loop: Header=BB0_377 Depth=2
	v_and_b32_e32 v6, 7, v42
	v_lshrrev_b32_e32 v7, 3, v0
	v_cmp_gt_u32_e32 vcc, 8, v0
	v_ffbh_u32_e32 v0, v6
	v_min_u32_e32 v0, 32, v0
	v_subrev_u32_e32 v6, 28, v0
	v_sub_u32_e32 v0, 29, v0
	v_cndmask_b32_e32 v6, 0, v6, vcc
	v_cndmask_b32_e32 v0, v7, v0, vcc
	v_lshlrev_b64 v[6:7], v6, v[42:43]
	v_lshlrev_b32_e32 v7, 24, v42
	v_lshlrev_b32_e32 v6, 20, v6
	v_and_b32_e32 v6, 0x700000, v6
	v_and_b32_e32 v7, 0x80000000, v7
	v_lshl_add_u32 v0, v0, 23, v27
	v_or3_b32 v7, v7, v0, v6
.LBB0_403:                              ;   in Loop: Header=BB0_377 Depth=2
	s_or_b64 exec, exec, s[72:73]
.LBB0_404:                              ;   in Loop: Header=BB0_377 Depth=2
	s_or_b64 exec, exec, s[62:63]
.LBB0_405:                              ;   in Loop: Header=BB0_377 Depth=2
	s_or_b64 exec, exec, s[16:17]
	v_mul_f32_e32 v10, v10, v7
	v_and_b32_e32 v6, 0x7f800000, v10
	v_mov_b32_e32 v7, v43
	v_cmp_ne_u64_e32 vcc, s[46:47], v[6:7]
                                        ; implicit-def: $vgpr7
	s_and_saveexec_b64 s[16:17], vcc
	s_xor_b64 s[62:63], exec, s[16:17]
	s_cbranch_execz .LBB0_419
; %bb.406:                              ;   in Loop: Header=BB0_377 Depth=2
	v_and_b32_e32 v6, 0x7fffffff, v10
	v_mov_b32_e32 v7, v43
	v_cmp_gt_u64_e32 vcc, s[56:57], v[6:7]
	v_and_b32_sdwa v0, v10, s36 dst_sel:DWORD dst_unused:UNUSED_PAD src0_sel:BYTE_3 src1_sel:DWORD
                                        ; implicit-def: $vgpr7
	s_and_saveexec_b64 s[16:17], vcc
	s_xor_b64 s[72:73], exec, s[16:17]
	s_cbranch_execz .LBB0_416
; %bb.407:                              ;   in Loop: Header=BB0_377 Depth=2
	v_mov_b32_e32 v7, 0
	v_cmp_ne_u32_e32 vcc, 0, v10
	s_and_saveexec_b64 s[74:75], vcc
	s_cbranch_execz .LBB0_415
; %bb.408:                              ;   in Loop: Header=BB0_377 Depth=2
	v_bfe_u32 v7, v10, 23, 8
	v_and_b32_e32 v6, 0x7fffff, v10
	v_cmp_gt_u32_e64 s[16:17], s38, v7
	v_sub_u32_e32 v10, 0x79, v7
	v_cmp_eq_u32_e32 vcc, 0, v7
	v_cndmask_b32_e64 v10, 0, v10, s[16:17]
	v_or_b32_e32 v11, 0x800000, v6
	v_cndmask_b32_e32 v10, v10, v5, vcc
	v_cndmask_b32_e32 v30, v11, v6, vcc
	v_add_u32_e32 v6, 20, v10
	v_lshlrev_b64 v[46:47], v6, -1
	v_mov_b32_e32 v31, v43
	v_add_u32_e32 v6, 19, v10
	v_bfi_b32 v46, v46, 0, v30
	v_lshlrev_b64 v[59:60], v6, 1
	v_lshrrev_b64 v[30:31], v10, v[30:31]
	v_bfi_b32 v47, v47, 0, 0
	v_cmp_eq_u64_e64 s[16:17], v[46:47], v[59:60]
	v_mov_b32_e32 v32, v31
	v_mov_b32_e32 v31, v30
	s_and_saveexec_b64 s[76:77], s[16:17]
; %bb.409:                              ;   in Loop: Header=BB0_377 Depth=2
	v_bfe_u32 v6, v30, 20, 1
	v_add_co_u32_e64 v6, s[16:17], v30, v6
	v_add_co_u32_e64 v31, s[16:17], -1, v6
; %bb.410:                              ;   in Loop: Header=BB0_377 Depth=2
	s_or_b64 exec, exec, s[76:77]
	v_add_u32_e32 v6, 0xffffff81, v7
	v_cndmask_b32_e32 v6, v6, v8, vcc
	v_lshrrev_b32_e32 v7, 23, v30
	v_add3_u32 v10, v10, v6, v7
	v_add_u32_e32 v6, 6, v10
	v_and_b32_e32 v7, 0xfffff, v31
	v_add_u32_e32 v30, v7, v30
	v_mov_b32_e32 v31, v43
	v_cmp_ne_u32_e32 vcc, 0, v6
                                        ; implicit-def: $vgpr7
	s_and_saveexec_b64 s[16:17], vcc
	s_xor_b64 s[16:17], exec, s[16:17]
; %bb.411:                              ;   in Loop: Header=BB0_377 Depth=2
	v_cmp_lt_u64_e32 vcc, s[58:59], v[30:31]
	v_add_u32_e32 v7, 7, v10
	v_cndmask_b32_e32 v7, v6, v7, vcc
	v_cndmask_b32_e64 v6, 0, 1, vcc
	v_lshrrev_b64 v[30:31], v6, v[30:31]
; %bb.412:                              ;   in Loop: Header=BB0_377 Depth=2
	s_andn2_saveexec_b64 s[16:17], s[16:17]
; %bb.413:                              ;   in Loop: Header=BB0_377 Depth=2
	v_bfe_u32 v7, v30, 23, 1
; %bb.414:                              ;   in Loop: Header=BB0_377 Depth=2
	s_or_b64 exec, exec, s[16:17]
	v_lshrrev_b64 v[10:11], 20, v[30:31]
	v_cmp_gt_i32_e32 vcc, 16, v7
	v_cndmask_b32_e32 v11, 0, v11, vcc
	v_cndmask_b32_e32 v10, 7, v10, vcc
	v_min_i32_e32 v6, 15, v7
	v_cmp_eq_u64_e64 s[16:17], 0, v[10:11]
	v_lshlrev_b32_e32 v6, 3, v6
	v_cmp_eq_u32_e32 vcc, 0, v7
	v_and_b32_e32 v6, 0xf8, v6
	v_and_or_b32 v6, v10, 7, v6
	s_and_b64 s[16:17], vcc, s[16:17]
	v_cndmask_b32_e64 v6, v6, 0, s[16:17]
	v_or_b32_e32 v7, v6, v0
.LBB0_415:                              ;   in Loop: Header=BB0_377 Depth=2
	s_or_b64 exec, exec, s[74:75]
                                        ; implicit-def: $vgpr0
.LBB0_416:                              ;   in Loop: Header=BB0_377 Depth=2
	s_andn2_saveexec_b64 s[16:17], s[72:73]
; %bb.417:                              ;   in Loop: Header=BB0_377 Depth=2
	v_or_b32_e32 v7, 0x7e, v0
; %bb.418:                              ;   in Loop: Header=BB0_377 Depth=2
	s_or_b64 exec, exec, s[16:17]
                                        ; implicit-def: $vgpr10
.LBB0_419:                              ;   in Loop: Header=BB0_377 Depth=2
	s_andn2_saveexec_b64 s[16:17], s[62:63]
; %bb.420:                              ;   in Loop: Header=BB0_377 Depth=2
	v_or_b32_sdwa v7, v10, s37 dst_sel:DWORD dst_unused:UNUSED_PAD src0_sel:BYTE_3 src1_sel:DWORD
; %bb.421:                              ;   in Loop: Header=BB0_377 Depth=2
	s_or_b64 exec, exec, s[16:17]
	v_lshrrev_b16_e32 v0, 8, v18
	v_cmp_ne_u16_e32 vcc, 0, v0
	v_mov_b32_e32 v10, 0
	v_mov_b32_e32 v11, 0
	s_and_saveexec_b64 s[16:17], vcc
	s_cbranch_execz .LBB0_427
; %bb.422:                              ;   in Loop: Header=BB0_377 Depth=2
	v_cmp_ne_u16_e32 vcc, s36, v0
	v_bfrev_b32_e32 v11, 1
	s_and_saveexec_b64 s[62:63], vcc
	s_cbranch_execz .LBB0_426
; %bb.423:                              ;   in Loop: Header=BB0_377 Depth=2
	v_and_b32_e32 v6, 0x7f, v0
	v_cmp_ne_u32_e32 vcc, s37, v6
	v_mov_b32_e32 v11, 0x7f800001
	s_and_saveexec_b64 s[72:73], vcc
	s_cbranch_execz .LBB0_425
; %bb.424:                              ;   in Loop: Header=BB0_377 Depth=2
	v_and_b32_e32 v11, 7, v0
	v_lshrrev_b32_e32 v19, 3, v6
	v_cmp_gt_u32_e32 vcc, 8, v6
	v_ffbh_u32_e32 v6, v11
	v_min_u32_e32 v6, 32, v6
	v_subrev_u32_e32 v30, 28, v6
	v_lshlrev_b64 v[30:31], v30, v[0:1]
	v_sub_u32_e32 v0, 29, v6
	v_and_b32_e32 v6, 7, v30
	v_cndmask_b32_e32 v0, v19, v0, vcc
	v_cndmask_b32_e32 v6, v11, v6, vcc
	v_lshlrev_b32_e32 v11, 16, v18
	v_lshlrev_b32_e32 v6, 20, v6
	v_and_b32_e32 v11, 0x80000000, v11
	v_lshl_add_u32 v0, v0, 23, v27
	v_or3_b32 v11, v11, v0, v6
.LBB0_425:                              ;   in Loop: Header=BB0_377 Depth=2
	s_or_b64 exec, exec, s[72:73]
.LBB0_426:                              ;   in Loop: Header=BB0_377 Depth=2
	s_or_b64 exec, exec, s[62:63]
.LBB0_427:                              ;   in Loop: Header=BB0_377 Depth=2
	s_or_b64 exec, exec, s[16:17]
	v_lshrrev_b16_e32 v0, 8, v42
	v_cmp_ne_u16_e32 vcc, 0, v0
	s_and_saveexec_b64 s[16:17], vcc
	s_cbranch_execz .LBB0_433
; %bb.428:                              ;   in Loop: Header=BB0_377 Depth=2
	v_cmp_ne_u16_e32 vcc, s36, v0
	v_bfrev_b32_e32 v10, 1
	s_and_saveexec_b64 s[62:63], vcc
	s_cbranch_execz .LBB0_432
; %bb.429:                              ;   in Loop: Header=BB0_377 Depth=2
	v_and_b32_e32 v6, 0x7f, v0
	v_cmp_ne_u32_e32 vcc, s37, v6
	v_mov_b32_e32 v10, 0x7f800001
	s_and_saveexec_b64 s[72:73], vcc
	s_cbranch_execz .LBB0_431
; %bb.430:                              ;   in Loop: Header=BB0_377 Depth=2
	v_and_b32_e32 v10, 7, v0
	v_lshrrev_b32_e32 v19, 3, v6
	v_cmp_gt_u32_e32 vcc, 8, v6
	v_ffbh_u32_e32 v6, v10
	v_min_u32_e32 v6, 32, v6
	v_subrev_u32_e32 v30, 28, v6
	v_lshlrev_b64 v[30:31], v30, v[0:1]
	v_sub_u32_e32 v0, 29, v6
	v_and_b32_e32 v6, 7, v30
	v_cndmask_b32_e32 v0, v19, v0, vcc
	v_cndmask_b32_e32 v6, v10, v6, vcc
	v_lshlrev_b32_e32 v10, 16, v42
	v_lshlrev_b32_e32 v6, 20, v6
	v_and_b32_e32 v10, 0x80000000, v10
	v_lshl_add_u32 v0, v0, 23, v27
	v_or3_b32 v10, v10, v0, v6
.LBB0_431:                              ;   in Loop: Header=BB0_377 Depth=2
	s_or_b64 exec, exec, s[72:73]
.LBB0_432:                              ;   in Loop: Header=BB0_377 Depth=2
	s_or_b64 exec, exec, s[62:63]
.LBB0_433:                              ;   in Loop: Header=BB0_377 Depth=2
	s_or_b64 exec, exec, s[16:17]
	v_mul_f32_e32 v11, v11, v10
	v_and_b32_e32 v30, 0x7f800000, v11
	v_mov_b32_e32 v31, v43
	v_cmp_ne_u64_e32 vcc, s[46:47], v[30:31]
                                        ; implicit-def: $vgpr10
	s_and_saveexec_b64 s[16:17], vcc
	s_xor_b64 s[62:63], exec, s[16:17]
	s_cbranch_execz .LBB0_447
; %bb.434:                              ;   in Loop: Header=BB0_377 Depth=2
	v_and_b32_e32 v30, 0x7fffffff, v11
	v_mov_b32_e32 v31, v43
	v_cmp_gt_u64_e32 vcc, s[56:57], v[30:31]
	v_and_b32_sdwa v0, v11, s36 dst_sel:DWORD dst_unused:UNUSED_PAD src0_sel:BYTE_3 src1_sel:DWORD
                                        ; implicit-def: $vgpr10
	s_and_saveexec_b64 s[16:17], vcc
	s_xor_b64 s[72:73], exec, s[16:17]
	s_cbranch_execz .LBB0_444
; %bb.435:                              ;   in Loop: Header=BB0_377 Depth=2
	v_mov_b32_e32 v10, 0
	v_cmp_ne_u32_e32 vcc, 0, v11
	s_and_saveexec_b64 s[74:75], vcc
	s_cbranch_execz .LBB0_443
; %bb.436:                              ;   in Loop: Header=BB0_377 Depth=2
	v_bfe_u32 v10, v11, 23, 8
	v_and_b32_e32 v6, 0x7fffff, v11
	v_cmp_gt_u32_e64 s[16:17], s38, v10
	v_sub_u32_e32 v11, 0x79, v10
	v_cmp_eq_u32_e32 vcc, 0, v10
	v_cndmask_b32_e64 v11, 0, v11, s[16:17]
	v_or_b32_e32 v19, 0x800000, v6
	v_cndmask_b32_e32 v11, v11, v5, vcc
	v_cndmask_b32_e32 v30, v19, v6, vcc
	v_add_u32_e32 v6, 20, v11
	v_lshlrev_b64 v[46:47], v6, -1
	v_mov_b32_e32 v31, v43
	v_add_u32_e32 v6, 19, v11
	v_bfi_b32 v46, v46, 0, v30
	v_lshlrev_b64 v[59:60], v6, 1
	v_lshrrev_b64 v[30:31], v11, v[30:31]
	v_bfi_b32 v47, v47, 0, 0
	v_cmp_eq_u64_e64 s[16:17], v[46:47], v[59:60]
	v_mov_b32_e32 v32, v31
	v_mov_b32_e32 v31, v30
	s_and_saveexec_b64 s[76:77], s[16:17]
; %bb.437:                              ;   in Loop: Header=BB0_377 Depth=2
	v_bfe_u32 v6, v30, 20, 1
	v_add_co_u32_e64 v6, s[16:17], v30, v6
	v_add_co_u32_e64 v31, s[16:17], -1, v6
; %bb.438:                              ;   in Loop: Header=BB0_377 Depth=2
	s_or_b64 exec, exec, s[76:77]
	v_add_u32_e32 v6, 0xffffff81, v10
	v_cndmask_b32_e32 v6, v6, v8, vcc
	v_lshrrev_b32_e32 v10, 23, v30
	v_add3_u32 v11, v11, v6, v10
	v_add_u32_e32 v6, 6, v11
	v_and_b32_e32 v10, 0xfffff, v31
	v_add_u32_e32 v30, v10, v30
	v_mov_b32_e32 v31, v43
	v_cmp_ne_u32_e32 vcc, 0, v6
                                        ; implicit-def: $vgpr10
	s_and_saveexec_b64 s[16:17], vcc
	s_xor_b64 s[16:17], exec, s[16:17]
; %bb.439:                              ;   in Loop: Header=BB0_377 Depth=2
	v_cmp_lt_u64_e32 vcc, s[58:59], v[30:31]
	v_add_u32_e32 v10, 7, v11
	v_cndmask_b32_e32 v10, v6, v10, vcc
	v_cndmask_b32_e64 v6, 0, 1, vcc
	v_lshrrev_b64 v[30:31], v6, v[30:31]
; %bb.440:                              ;   in Loop: Header=BB0_377 Depth=2
	s_andn2_saveexec_b64 s[16:17], s[16:17]
; %bb.441:                              ;   in Loop: Header=BB0_377 Depth=2
	v_bfe_u32 v10, v30, 23, 1
; %bb.442:                              ;   in Loop: Header=BB0_377 Depth=2
	s_or_b64 exec, exec, s[16:17]
	v_lshrrev_b64 v[30:31], 20, v[30:31]
	v_cmp_gt_i32_e32 vcc, 16, v10
	v_cndmask_b32_e32 v31, 0, v31, vcc
	v_cndmask_b32_e32 v30, 7, v30, vcc
	v_min_i32_e32 v6, 15, v10
	v_cmp_eq_u64_e64 s[16:17], 0, v[30:31]
	v_lshlrev_b32_e32 v6, 3, v6
	v_cmp_eq_u32_e32 vcc, 0, v10
	v_and_b32_e32 v6, 0xf8, v6
	v_and_or_b32 v6, v30, 7, v6
	s_and_b64 s[16:17], vcc, s[16:17]
	v_cndmask_b32_e64 v6, v6, 0, s[16:17]
	v_or_b32_e32 v10, v6, v0
.LBB0_443:                              ;   in Loop: Header=BB0_377 Depth=2
	s_or_b64 exec, exec, s[74:75]
                                        ; implicit-def: $vgpr0
.LBB0_444:                              ;   in Loop: Header=BB0_377 Depth=2
	s_andn2_saveexec_b64 s[16:17], s[72:73]
; %bb.445:                              ;   in Loop: Header=BB0_377 Depth=2
	v_or_b32_e32 v10, 0x7e, v0
; %bb.446:                              ;   in Loop: Header=BB0_377 Depth=2
	s_or_b64 exec, exec, s[16:17]
                                        ; implicit-def: $vgpr11
.LBB0_447:                              ;   in Loop: Header=BB0_377 Depth=2
	s_andn2_saveexec_b64 s[16:17], s[62:63]
; %bb.448:                              ;   in Loop: Header=BB0_377 Depth=2
	v_or_b32_sdwa v10, v11, s37 dst_sel:DWORD dst_unused:UNUSED_PAD src0_sel:BYTE_3 src1_sel:DWORD
; %bb.449:                              ;   in Loop: Header=BB0_377 Depth=2
	s_or_b64 exec, exec, s[16:17]
	v_lshrrev_b32_e32 v0, 16, v18
	v_cmp_ne_u16_sdwa s[62:63], v0, v43 src0_sel:BYTE_0 src1_sel:DWORD
	v_mov_b32_e32 v11, 0
	v_mov_b32_e32 v19, 0
	s_and_saveexec_b64 s[16:17], s[62:63]
	s_cbranch_execz .LBB0_455
; %bb.450:                              ;   in Loop: Header=BB0_377 Depth=2
	v_cmp_ne_u16_sdwa s[72:73], v0, s36 src0_sel:BYTE_0 src1_sel:DWORD
	v_bfrev_b32_e32 v19, 1
	s_and_saveexec_b64 s[62:63], s[72:73]
	s_cbranch_execz .LBB0_454
; %bb.451:                              ;   in Loop: Header=BB0_377 Depth=2
	v_bfe_u32 v6, v18, 16, 7
	v_cmp_ne_u32_e32 vcc, s37, v6
	v_mov_b32_e32 v19, 0x7f800001
	s_and_saveexec_b64 s[72:73], vcc
	s_cbranch_execz .LBB0_453
; %bb.452:                              ;   in Loop: Header=BB0_377 Depth=2
	v_and_b32_e32 v19, 7, v0
	v_lshrrev_b32_e32 v32, 3, v6
	v_cmp_gt_u32_e32 vcc, 8, v6
	v_ffbh_u32_e32 v6, v19
	v_min_u32_e32 v6, 32, v6
	v_subrev_u32_e32 v30, 28, v6
	v_lshlrev_b64 v[30:31], v30, v[0:1]
	v_sub_u32_e32 v6, 29, v6
	v_and_b32_e32 v30, 7, v30
	v_cndmask_b32_e32 v6, v32, v6, vcc
	v_cndmask_b32_e32 v19, v19, v30, vcc
	v_lshlrev_b32_e32 v0, 24, v0
	v_lshlrev_b32_e32 v19, 20, v19
	v_and_b32_e32 v0, 0x80000000, v0
	v_lshl_add_u32 v6, v6, 23, v27
	v_or3_b32 v19, v0, v6, v19
.LBB0_453:                              ;   in Loop: Header=BB0_377 Depth=2
	s_or_b64 exec, exec, s[72:73]
.LBB0_454:                              ;   in Loop: Header=BB0_377 Depth=2
	s_or_b64 exec, exec, s[62:63]
.LBB0_455:                              ;   in Loop: Header=BB0_377 Depth=2
	s_or_b64 exec, exec, s[16:17]
	v_and_b32_sdwa v6, v42, s35 dst_sel:DWORD dst_unused:UNUSED_PAD src0_sel:WORD_1 src1_sel:DWORD
	v_lshrrev_b32_e32 v0, 16, v42
	v_cmp_ne_u16_e32 vcc, 0, v6
	s_and_saveexec_b64 s[16:17], vcc
	s_cbranch_execz .LBB0_461
; %bb.456:                              ;   in Loop: Header=BB0_377 Depth=2
	v_cmp_ne_u16_e32 vcc, s36, v6
	v_bfrev_b32_e32 v11, 1
	s_and_saveexec_b64 s[62:63], vcc
	s_cbranch_execz .LBB0_460
; %bb.457:                              ;   in Loop: Header=BB0_377 Depth=2
	v_bfe_u32 v6, v42, 16, 7
	v_cmp_ne_u32_e32 vcc, s37, v6
	v_mov_b32_e32 v11, 0x7f800001
	s_and_saveexec_b64 s[72:73], vcc
	s_cbranch_execz .LBB0_459
; %bb.458:                              ;   in Loop: Header=BB0_377 Depth=2
	v_and_b32_e32 v11, 7, v0
	v_lshrrev_b32_e32 v32, 3, v6
	v_cmp_gt_u32_e32 vcc, 8, v6
	v_ffbh_u32_e32 v6, v11
	v_min_u32_e32 v6, 32, v6
	v_subrev_u32_e32 v30, 28, v6
	v_lshlrev_b64 v[30:31], v30, v[0:1]
	v_sub_u32_e32 v0, 29, v6
	v_and_b32_e32 v6, 7, v30
	v_cndmask_b32_e32 v0, v32, v0, vcc
	v_cndmask_b32_e32 v6, v11, v6, vcc
	v_lshlrev_b32_e32 v11, 8, v42
	v_lshlrev_b32_e32 v6, 20, v6
	v_and_b32_e32 v11, 0x80000000, v11
	v_lshl_add_u32 v0, v0, 23, v27
	v_or3_b32 v11, v11, v0, v6
.LBB0_459:                              ;   in Loop: Header=BB0_377 Depth=2
	s_or_b64 exec, exec, s[72:73]
.LBB0_460:                              ;   in Loop: Header=BB0_377 Depth=2
	s_or_b64 exec, exec, s[62:63]
.LBB0_461:                              ;   in Loop: Header=BB0_377 Depth=2
	s_or_b64 exec, exec, s[16:17]
	v_mul_f32_e32 v19, v19, v11
	v_and_b32_e32 v30, 0x7f800000, v19
	v_mov_b32_e32 v31, v43
	v_cmp_ne_u64_e32 vcc, s[46:47], v[30:31]
                                        ; implicit-def: $vgpr11
	s_and_saveexec_b64 s[16:17], vcc
	s_xor_b64 s[62:63], exec, s[16:17]
	s_cbranch_execz .LBB0_475
; %bb.462:                              ;   in Loop: Header=BB0_377 Depth=2
	v_and_b32_e32 v30, 0x7fffffff, v19
	v_mov_b32_e32 v31, v43
	v_cmp_gt_u64_e32 vcc, s[56:57], v[30:31]
	v_and_b32_sdwa v0, v19, s36 dst_sel:DWORD dst_unused:UNUSED_PAD src0_sel:BYTE_3 src1_sel:DWORD
                                        ; implicit-def: $vgpr11
	s_and_saveexec_b64 s[16:17], vcc
	s_xor_b64 s[72:73], exec, s[16:17]
	s_cbranch_execz .LBB0_472
; %bb.463:                              ;   in Loop: Header=BB0_377 Depth=2
	v_mov_b32_e32 v11, 0
	v_cmp_ne_u32_e32 vcc, 0, v19
	s_and_saveexec_b64 s[74:75], vcc
	s_cbranch_execz .LBB0_471
; %bb.464:                              ;   in Loop: Header=BB0_377 Depth=2
	v_bfe_u32 v11, v19, 23, 8
	v_and_b32_e32 v6, 0x7fffff, v19
	v_cmp_gt_u32_e64 s[16:17], s38, v11
	v_sub_u32_e32 v19, 0x79, v11
	v_cmp_eq_u32_e32 vcc, 0, v11
	v_cndmask_b32_e64 v19, 0, v19, s[16:17]
	v_or_b32_e32 v30, 0x800000, v6
	v_cndmask_b32_e32 v19, v19, v5, vcc
	v_cndmask_b32_e32 v30, v30, v6, vcc
	v_add_u32_e32 v6, 20, v19
	v_lshlrev_b64 v[46:47], v6, -1
	v_mov_b32_e32 v31, v43
	v_add_u32_e32 v6, 19, v19
	v_bfi_b32 v46, v46, 0, v30
	v_lshlrev_b64 v[59:60], v6, 1
	v_lshrrev_b64 v[30:31], v19, v[30:31]
	v_bfi_b32 v47, v47, 0, 0
	v_cmp_eq_u64_e64 s[16:17], v[46:47], v[59:60]
	v_mov_b32_e32 v32, v31
	v_mov_b32_e32 v31, v30
	s_and_saveexec_b64 s[76:77], s[16:17]
; %bb.465:                              ;   in Loop: Header=BB0_377 Depth=2
	v_bfe_u32 v6, v30, 20, 1
	v_add_co_u32_e64 v6, s[16:17], v30, v6
	v_add_co_u32_e64 v31, s[16:17], -1, v6
; %bb.466:                              ;   in Loop: Header=BB0_377 Depth=2
	s_or_b64 exec, exec, s[76:77]
	v_add_u32_e32 v6, 0xffffff81, v11
	v_cndmask_b32_e32 v6, v6, v8, vcc
	v_lshrrev_b32_e32 v11, 23, v30
	v_add3_u32 v19, v19, v6, v11
	v_add_u32_e32 v6, 6, v19
	v_and_b32_e32 v11, 0xfffff, v31
	v_add_u32_e32 v30, v11, v30
	v_mov_b32_e32 v31, v43
	v_cmp_ne_u32_e32 vcc, 0, v6
                                        ; implicit-def: $vgpr11
	s_and_saveexec_b64 s[16:17], vcc
	s_xor_b64 s[16:17], exec, s[16:17]
; %bb.467:                              ;   in Loop: Header=BB0_377 Depth=2
	v_cmp_lt_u64_e32 vcc, s[58:59], v[30:31]
	v_add_u32_e32 v11, 7, v19
	v_cndmask_b32_e32 v11, v6, v11, vcc
	v_cndmask_b32_e64 v6, 0, 1, vcc
	v_lshrrev_b64 v[30:31], v6, v[30:31]
; %bb.468:                              ;   in Loop: Header=BB0_377 Depth=2
	s_andn2_saveexec_b64 s[16:17], s[16:17]
; %bb.469:                              ;   in Loop: Header=BB0_377 Depth=2
	v_bfe_u32 v11, v30, 23, 1
; %bb.470:                              ;   in Loop: Header=BB0_377 Depth=2
	s_or_b64 exec, exec, s[16:17]
	v_lshrrev_b64 v[30:31], 20, v[30:31]
	v_cmp_gt_i32_e32 vcc, 16, v11
	v_cndmask_b32_e32 v31, 0, v31, vcc
	v_cndmask_b32_e32 v30, 7, v30, vcc
	v_min_i32_e32 v6, 15, v11
	v_cmp_eq_u64_e64 s[16:17], 0, v[30:31]
	v_lshlrev_b32_e32 v6, 3, v6
	v_cmp_eq_u32_e32 vcc, 0, v11
	v_and_b32_e32 v6, 0xf8, v6
	v_and_or_b32 v6, v30, 7, v6
	s_and_b64 s[16:17], vcc, s[16:17]
	v_cndmask_b32_e64 v6, v6, 0, s[16:17]
	v_or_b32_e32 v11, v6, v0
.LBB0_471:                              ;   in Loop: Header=BB0_377 Depth=2
	s_or_b64 exec, exec, s[74:75]
                                        ; implicit-def: $vgpr0
.LBB0_472:                              ;   in Loop: Header=BB0_377 Depth=2
	s_andn2_saveexec_b64 s[16:17], s[72:73]
; %bb.473:                              ;   in Loop: Header=BB0_377 Depth=2
	v_or_b32_e32 v11, 0x7e, v0
; %bb.474:                              ;   in Loop: Header=BB0_377 Depth=2
	s_or_b64 exec, exec, s[16:17]
                                        ; implicit-def: $vgpr19
.LBB0_475:                              ;   in Loop: Header=BB0_377 Depth=2
	s_andn2_saveexec_b64 s[16:17], s[62:63]
; %bb.476:                              ;   in Loop: Header=BB0_377 Depth=2
	v_or_b32_sdwa v11, v19, s37 dst_sel:DWORD dst_unused:UNUSED_PAD src0_sel:BYTE_3 src1_sel:DWORD
; %bb.477:                              ;   in Loop: Header=BB0_377 Depth=2
	s_or_b64 exec, exec, s[16:17]
	v_cmp_lt_u32_e32 vcc, s39, v18
	v_mov_b32_e32 v19, 0
	v_mov_b32_e32 v30, 0
	s_and_saveexec_b64 s[16:17], vcc
	s_cbranch_execz .LBB0_483
; %bb.478:                              ;   in Loop: Header=BB0_377 Depth=2
	v_lshrrev_b32_e32 v0, 24, v18
	v_cmp_ne_u32_e32 vcc, s36, v0
	v_bfrev_b32_e32 v30, 1
	s_and_saveexec_b64 s[62:63], vcc
	s_cbranch_execz .LBB0_482
; %bb.479:                              ;   in Loop: Header=BB0_377 Depth=2
	v_bfe_u32 v6, v18, 24, 7
	v_cmp_ne_u32_e32 vcc, s37, v6
	v_mov_b32_e32 v30, 0x7f800001
	s_and_saveexec_b64 s[72:73], vcc
	s_cbranch_execz .LBB0_481
; %bb.480:                              ;   in Loop: Header=BB0_377 Depth=2
	v_and_b32_e32 v18, 7, v0
	v_lshrrev_b32_e32 v32, 3, v6
	v_cmp_gt_u32_e32 vcc, 8, v6
	v_ffbh_u32_e32 v6, v18
	v_min_u32_e32 v6, 32, v6
	v_subrev_u32_e32 v30, 28, v6
	v_lshlrev_b64 v[30:31], v30, v[0:1]
	v_sub_u32_e32 v6, 29, v6
	v_and_b32_e32 v30, 7, v30
	v_cndmask_b32_e32 v6, v32, v6, vcc
	v_cndmask_b32_e32 v18, v18, v30, vcc
	v_lshlrev_b32_e32 v0, 24, v0
	v_lshlrev_b32_e32 v18, 20, v18
	v_and_b32_e32 v0, 0x80000000, v0
	v_lshl_add_u32 v6, v6, 23, v27
	v_or3_b32 v30, v0, v6, v18
.LBB0_481:                              ;   in Loop: Header=BB0_377 Depth=2
	s_or_b64 exec, exec, s[72:73]
.LBB0_482:                              ;   in Loop: Header=BB0_377 Depth=2
	s_or_b64 exec, exec, s[62:63]
.LBB0_483:                              ;   in Loop: Header=BB0_377 Depth=2
	s_or_b64 exec, exec, s[16:17]
	v_cmp_lt_u32_e32 vcc, s39, v42
	s_and_saveexec_b64 s[16:17], vcc
	s_cbranch_execz .LBB0_489
; %bb.484:                              ;   in Loop: Header=BB0_377 Depth=2
	v_lshrrev_b32_e32 v0, 24, v42
	v_cmp_ne_u32_sdwa s[72:73], v42, s36 src0_sel:BYTE_3 src1_sel:DWORD
	v_bfrev_b32_e32 v19, 1
	s_and_saveexec_b64 s[62:63], s[72:73]
	s_cbranch_execz .LBB0_488
; %bb.485:                              ;   in Loop: Header=BB0_377 Depth=2
	v_bfe_u32 v6, v42, 24, 7
	v_cmp_ne_u32_e32 vcc, s37, v6
	v_mov_b32_e32 v19, 0x7f800001
	s_and_saveexec_b64 s[72:73], vcc
	s_cbranch_execz .LBB0_487
; %bb.486:                              ;   in Loop: Header=BB0_377 Depth=2
	v_and_b32_e32 v31, 7, v0
	v_lshrrev_b32_e32 v32, 3, v6
	v_cmp_gt_u32_e32 vcc, 8, v6
	v_ffbh_u32_e32 v6, v31
	v_min_u32_e32 v6, 32, v6
	v_subrev_u32_e32 v18, 28, v6
	v_lshlrev_b64 v[18:19], v18, v[0:1]
	v_sub_u32_e32 v0, 29, v6
	v_and_b32_e32 v6, 7, v18
	v_cndmask_b32_e32 v0, v32, v0, vcc
	v_cndmask_b32_e32 v6, v31, v6, vcc
	v_lshlrev_b32_sdwa v18, v9, v42 dst_sel:DWORD dst_unused:UNUSED_PAD src0_sel:DWORD src1_sel:BYTE_3
	v_lshlrev_b32_e32 v6, 20, v6
	v_and_b32_e32 v18, 0x80000000, v18
	v_lshl_add_u32 v0, v0, 23, v27
	v_or3_b32 v19, v18, v0, v6
.LBB0_487:                              ;   in Loop: Header=BB0_377 Depth=2
	s_or_b64 exec, exec, s[72:73]
.LBB0_488:                              ;   in Loop: Header=BB0_377 Depth=2
	s_or_b64 exec, exec, s[62:63]
.LBB0_489:                              ;   in Loop: Header=BB0_377 Depth=2
	s_or_b64 exec, exec, s[16:17]
	v_mul_f32_e32 v18, v30, v19
	v_and_b32_e32 v42, 0x7f800000, v18
	v_cmp_ne_u64_e32 vcc, s[46:47], v[42:43]
                                        ; implicit-def: $vgpr32
	s_and_saveexec_b64 s[16:17], vcc
	s_xor_b64 s[62:63], exec, s[16:17]
	s_cbranch_execz .LBB0_503
; %bb.490:                              ;   in Loop: Header=BB0_377 Depth=2
	v_and_b32_e32 v42, 0x7fffffff, v18
	v_cmp_gt_u64_e32 vcc, s[56:57], v[42:43]
	v_and_b32_sdwa v0, v18, s36 dst_sel:DWORD dst_unused:UNUSED_PAD src0_sel:BYTE_3 src1_sel:DWORD
                                        ; implicit-def: $vgpr32
	s_and_saveexec_b64 s[16:17], vcc
	s_xor_b64 s[72:73], exec, s[16:17]
	s_cbranch_execz .LBB0_500
; %bb.491:                              ;   in Loop: Header=BB0_377 Depth=2
	v_mov_b32_e32 v32, 0
	v_cmp_ne_u32_e32 vcc, 0, v18
	s_and_saveexec_b64 s[74:75], vcc
	s_cbranch_execz .LBB0_499
; %bb.492:                              ;   in Loop: Header=BB0_377 Depth=2
	v_bfe_u32 v32, v18, 23, 8
	v_and_b32_e32 v6, 0x7fffff, v18
	v_cmp_gt_u32_e64 s[16:17], s38, v32
	v_sub_u32_e32 v18, 0x79, v32
	v_cmp_eq_u32_e32 vcc, 0, v32
	v_cndmask_b32_e64 v18, 0, v18, s[16:17]
	v_or_b32_e32 v19, 0x800000, v6
	v_cndmask_b32_e32 v41, v18, v5, vcc
	v_cndmask_b32_e32 v42, v19, v6, vcc
	v_add_u32_e32 v6, 20, v41
	v_lshlrev_b64 v[18:19], v6, -1
	v_add_u32_e32 v6, 19, v41
	v_lshlrev_b64 v[30:31], v6, 1
	v_bfi_b32 v19, v19, 0, 0
	v_bfi_b32 v18, v18, 0, v42
	v_cmp_eq_u64_e64 s[16:17], v[18:19], v[30:31]
	v_lshrrev_b64 v[18:19], v41, v[42:43]
	v_mov_b32_e32 v31, v19
	v_mov_b32_e32 v30, v18
	s_and_saveexec_b64 s[76:77], s[16:17]
; %bb.493:                              ;   in Loop: Header=BB0_377 Depth=2
	v_bfe_u32 v6, v18, 20, 1
	v_add_co_u32_e64 v6, s[16:17], v18, v6
	v_add_co_u32_e64 v30, s[16:17], -1, v6
; %bb.494:                              ;   in Loop: Header=BB0_377 Depth=2
	s_or_b64 exec, exec, s[76:77]
	v_add_u32_e32 v6, 0xffffff81, v32
	v_cndmask_b32_e32 v6, v6, v8, vcc
	v_lshrrev_b32_e32 v19, 23, v18
	v_add3_u32 v31, v41, v6, v19
	v_add_u32_e32 v6, 6, v31
	v_and_b32_e32 v19, 0xfffff, v30
	v_add_u32_e32 v42, v19, v18
	v_cmp_ne_u32_e32 vcc, 0, v6
                                        ; implicit-def: $vgpr18_vgpr19
                                        ; implicit-def: $vgpr30
	s_and_saveexec_b64 s[16:17], vcc
	s_xor_b64 s[16:17], exec, s[16:17]
; %bb.495:                              ;   in Loop: Header=BB0_377 Depth=2
	v_cmp_lt_u64_e32 vcc, s[58:59], v[42:43]
	v_add_u32_e32 v18, 7, v31
	v_cndmask_b32_e32 v30, v6, v18, vcc
	v_cndmask_b32_e64 v6, 0, 1, vcc
	v_lshrrev_b64 v[18:19], v6, v[42:43]
; %bb.496:                              ;   in Loop: Header=BB0_377 Depth=2
	s_andn2_saveexec_b64 s[16:17], s[16:17]
; %bb.497:                              ;   in Loop: Header=BB0_377 Depth=2
	v_mov_b32_e32 v18, v42
	v_bfe_u32 v30, v42, 23, 1
	v_mov_b32_e32 v19, v43
; %bb.498:                              ;   in Loop: Header=BB0_377 Depth=2
	s_or_b64 exec, exec, s[16:17]
	v_lshrrev_b64 v[18:19], 20, v[18:19]
	v_cmp_gt_i32_e32 vcc, 16, v30
	v_cndmask_b32_e32 v19, 0, v19, vcc
	v_cndmask_b32_e32 v18, 7, v18, vcc
	v_min_i32_e32 v6, 15, v30
	v_cmp_eq_u64_e64 s[16:17], 0, v[18:19]
	v_lshlrev_b32_e32 v6, 3, v6
	v_cmp_eq_u32_e32 vcc, 0, v30
	v_and_b32_e32 v6, 0xf8, v6
	v_and_or_b32 v6, v18, 7, v6
	s_and_b64 s[16:17], vcc, s[16:17]
	v_cndmask_b32_e64 v6, v6, 0, s[16:17]
	v_or_b32_e32 v32, v6, v0
.LBB0_499:                              ;   in Loop: Header=BB0_377 Depth=2
	s_or_b64 exec, exec, s[74:75]
                                        ; implicit-def: $vgpr0
.LBB0_500:                              ;   in Loop: Header=BB0_377 Depth=2
	s_andn2_saveexec_b64 s[16:17], s[72:73]
; %bb.501:                              ;   in Loop: Header=BB0_377 Depth=2
	v_or_b32_e32 v32, 0x7e, v0
; %bb.502:                              ;   in Loop: Header=BB0_377 Depth=2
	s_or_b64 exec, exec, s[16:17]
                                        ; implicit-def: $vgpr18
.LBB0_503:                              ;   in Loop: Header=BB0_377 Depth=2
	s_andn2_saveexec_b64 s[16:17], s[62:63]
; %bb.504:                              ;   in Loop: Header=BB0_377 Depth=2
	v_or_b32_sdwa v32, v18, s37 dst_sel:DWORD dst_unused:UNUSED_PAD src0_sel:BYTE_3 src1_sel:DWORD
; %bb.505:                              ;   in Loop: Header=BB0_377 Depth=2
	s_or_b64 exec, exec, s[16:17]
	v_cmp_ne_u16_sdwa s[62:63], v20, v43 src0_sel:BYTE_0 src1_sel:DWORD
	v_mov_b32_e32 v0, 0
	v_mov_b32_e32 v18, 0
	s_and_saveexec_b64 s[16:17], s[62:63]
	s_cbranch_execz .LBB0_511
; %bb.506:                              ;   in Loop: Header=BB0_377 Depth=2
	v_cmp_ne_u16_sdwa s[72:73], v20, s36 src0_sel:BYTE_0 src1_sel:DWORD
	v_bfrev_b32_e32 v18, 1
	s_and_saveexec_b64 s[62:63], s[72:73]
	s_cbranch_execz .LBB0_510
; %bb.507:                              ;   in Loop: Header=BB0_377 Depth=2
	v_and_b32_e32 v6, 0x7f, v20
	v_cmp_ne_u32_e32 vcc, s37, v6
	v_mov_b32_e32 v18, 0x7f800001
	s_and_saveexec_b64 s[72:73], vcc
	s_cbranch_execz .LBB0_509
; %bb.508:                              ;   in Loop: Header=BB0_377 Depth=2
	v_and_b32_e32 v18, 7, v20
	v_lshrrev_b32_e32 v19, 3, v6
	v_cmp_gt_u32_e32 vcc, 8, v6
	v_ffbh_u32_e32 v6, v18
	v_min_u32_e32 v6, 32, v6
	v_subrev_u32_e32 v18, 28, v6
	v_sub_u32_e32 v6, 29, v6
	v_cndmask_b32_e32 v18, 0, v18, vcc
	v_cndmask_b32_e32 v6, v19, v6, vcc
	v_lshlrev_b64 v[18:19], v18, v[20:21]
	v_lshlrev_b32_e32 v19, 24, v20
	v_lshlrev_b32_e32 v18, 20, v18
	v_and_b32_e32 v18, 0x700000, v18
	v_and_b32_e32 v19, 0x80000000, v19
	v_lshl_add_u32 v6, v6, 23, v27
	v_or3_b32 v18, v19, v6, v18
.LBB0_509:                              ;   in Loop: Header=BB0_377 Depth=2
	s_or_b64 exec, exec, s[72:73]
.LBB0_510:                              ;   in Loop: Header=BB0_377 Depth=2
	s_or_b64 exec, exec, s[62:63]
.LBB0_511:                              ;   in Loop: Header=BB0_377 Depth=2
	s_or_b64 exec, exec, s[16:17]
	v_alignbit_b32 v42, v34, v35, v33
	v_cmp_ne_u16_sdwa s[62:63], v42, v43 src0_sel:BYTE_0 src1_sel:DWORD
	s_and_saveexec_b64 s[16:17], s[62:63]
	s_cbranch_execz .LBB0_517
; %bb.512:                              ;   in Loop: Header=BB0_377 Depth=2
	v_cmp_ne_u16_sdwa s[72:73], v42, s36 src0_sel:BYTE_0 src1_sel:DWORD
	v_bfrev_b32_e32 v0, 1
	s_and_saveexec_b64 s[62:63], s[72:73]
	s_cbranch_execz .LBB0_516
; %bb.513:                              ;   in Loop: Header=BB0_377 Depth=2
	v_and_b32_e32 v6, 0x7f, v42
	v_cmp_ne_u32_e32 vcc, s37, v6
	v_mov_b32_e32 v0, 0x7f800001
	s_and_saveexec_b64 s[72:73], vcc
	s_cbranch_execz .LBB0_515
; %bb.514:                              ;   in Loop: Header=BB0_377 Depth=2
	v_and_b32_e32 v0, 7, v42
	v_ffbh_u32_e32 v0, v0
	v_min_u32_e32 v0, 32, v0
	v_lshrrev_b32_e32 v19, 3, v6
	v_cmp_gt_u32_e32 vcc, 8, v6
	v_subrev_u32_e32 v6, 28, v0
	v_cndmask_b32_e32 v6, 0, v6, vcc
	v_lshlrev_b64 v[30:31], v6, v[42:43]
	v_sub_u32_e32 v0, 29, v0
	v_cndmask_b32_e32 v0, v19, v0, vcc
	v_lshlrev_b32_e32 v6, 20, v30
	v_lshlrev_b32_e32 v19, 24, v42
	v_and_b32_e32 v6, 0x700000, v6
	v_and_b32_e32 v19, 0x80000000, v19
	v_lshl_add_u32 v0, v0, 23, v27
	v_or3_b32 v0, v19, v0, v6
.LBB0_515:                              ;   in Loop: Header=BB0_377 Depth=2
	s_or_b64 exec, exec, s[72:73]
.LBB0_516:                              ;   in Loop: Header=BB0_377 Depth=2
	s_or_b64 exec, exec, s[62:63]
.LBB0_517:                              ;   in Loop: Header=BB0_377 Depth=2
	s_or_b64 exec, exec, s[16:17]
	v_mul_f32_e32 v18, v18, v0
	v_and_b32_e32 v30, 0x7f800000, v18
	v_mov_b32_e32 v31, v43
	v_cmp_ne_u64_e32 vcc, s[46:47], v[30:31]
                                        ; implicit-def: $vgpr21
	s_and_saveexec_b64 s[16:17], vcc
	s_xor_b64 s[62:63], exec, s[16:17]
	s_cbranch_execz .LBB0_531
; %bb.518:                              ;   in Loop: Header=BB0_377 Depth=2
	v_and_b32_e32 v30, 0x7fffffff, v18
	v_mov_b32_e32 v31, v43
	v_cmp_gt_u64_e32 vcc, s[56:57], v[30:31]
	v_and_b32_sdwa v0, v18, s36 dst_sel:DWORD dst_unused:UNUSED_PAD src0_sel:BYTE_3 src1_sel:DWORD
                                        ; implicit-def: $vgpr21
	s_and_saveexec_b64 s[16:17], vcc
	s_xor_b64 s[72:73], exec, s[16:17]
	s_cbranch_execz .LBB0_528
; %bb.519:                              ;   in Loop: Header=BB0_377 Depth=2
	v_mov_b32_e32 v21, 0
	v_cmp_ne_u32_e32 vcc, 0, v18
	s_and_saveexec_b64 s[74:75], vcc
	s_cbranch_execz .LBB0_527
; %bb.520:                              ;   in Loop: Header=BB0_377 Depth=2
	v_bfe_u32 v21, v18, 23, 8
	v_and_b32_e32 v6, 0x7fffff, v18
	v_cmp_gt_u32_e64 s[16:17], s38, v21
	v_sub_u32_e32 v18, 0x79, v21
	v_cmp_eq_u32_e32 vcc, 0, v21
	v_cndmask_b32_e64 v18, 0, v18, s[16:17]
	v_or_b32_e32 v19, 0x800000, v6
	v_cndmask_b32_e32 v33, v18, v5, vcc
	v_cndmask_b32_e32 v18, v19, v6, vcc
	v_add_u32_e32 v6, 20, v33
	v_lshlrev_b64 v[30:31], v6, -1
	v_mov_b32_e32 v19, v43
	v_add_u32_e32 v6, 19, v33
	v_bfi_b32 v30, v30, 0, v18
	v_lshlrev_b64 v[34:35], v6, 1
	v_lshrrev_b64 v[18:19], v33, v[18:19]
	v_bfi_b32 v31, v31, 0, 0
	v_cmp_eq_u64_e64 s[16:17], v[30:31], v[34:35]
	v_mov_b32_e32 v31, v19
	v_mov_b32_e32 v30, v18
	s_and_saveexec_b64 s[76:77], s[16:17]
; %bb.521:                              ;   in Loop: Header=BB0_377 Depth=2
	v_bfe_u32 v6, v18, 20, 1
	v_add_co_u32_e64 v6, s[16:17], v18, v6
	v_add_co_u32_e64 v30, s[16:17], -1, v6
; %bb.522:                              ;   in Loop: Header=BB0_377 Depth=2
	s_or_b64 exec, exec, s[76:77]
	v_add_u32_e32 v6, 0xffffff81, v21
	v_cndmask_b32_e32 v6, v6, v8, vcc
	v_lshrrev_b32_e32 v19, 23, v18
	v_add3_u32 v31, v33, v6, v19
	v_add_u32_e32 v6, 6, v31
	v_and_b32_e32 v19, 0xfffff, v30
	v_add_u32_e32 v18, v19, v18
	v_mov_b32_e32 v19, v43
	v_cmp_ne_u32_e32 vcc, 0, v6
                                        ; implicit-def: $vgpr21
	s_and_saveexec_b64 s[16:17], vcc
	s_xor_b64 s[16:17], exec, s[16:17]
; %bb.523:                              ;   in Loop: Header=BB0_377 Depth=2
	v_cmp_lt_u64_e32 vcc, s[58:59], v[18:19]
	v_add_u32_e32 v21, 7, v31
	v_cndmask_b32_e32 v21, v6, v21, vcc
	v_cndmask_b32_e64 v6, 0, 1, vcc
	v_lshrrev_b64 v[18:19], v6, v[18:19]
; %bb.524:                              ;   in Loop: Header=BB0_377 Depth=2
	s_andn2_saveexec_b64 s[16:17], s[16:17]
; %bb.525:                              ;   in Loop: Header=BB0_377 Depth=2
	v_bfe_u32 v21, v18, 23, 1
; %bb.526:                              ;   in Loop: Header=BB0_377 Depth=2
	s_or_b64 exec, exec, s[16:17]
	v_lshrrev_b64 v[18:19], 20, v[18:19]
	v_cmp_gt_i32_e32 vcc, 16, v21
	v_cndmask_b32_e32 v19, 0, v19, vcc
	v_cndmask_b32_e32 v18, 7, v18, vcc
	v_min_i32_e32 v6, 15, v21
	v_cmp_eq_u64_e64 s[16:17], 0, v[18:19]
	v_lshlrev_b32_e32 v6, 3, v6
	v_cmp_eq_u32_e32 vcc, 0, v21
	v_and_b32_e32 v6, 0xf8, v6
	v_and_or_b32 v6, v18, 7, v6
	s_and_b64 s[16:17], vcc, s[16:17]
	v_cndmask_b32_e64 v6, v6, 0, s[16:17]
	v_or_b32_e32 v21, v6, v0
.LBB0_527:                              ;   in Loop: Header=BB0_377 Depth=2
	s_or_b64 exec, exec, s[74:75]
                                        ; implicit-def: $vgpr0
.LBB0_528:                              ;   in Loop: Header=BB0_377 Depth=2
	s_andn2_saveexec_b64 s[16:17], s[72:73]
; %bb.529:                              ;   in Loop: Header=BB0_377 Depth=2
	v_or_b32_e32 v21, 0x7e, v0
; %bb.530:                              ;   in Loop: Header=BB0_377 Depth=2
	s_or_b64 exec, exec, s[16:17]
                                        ; implicit-def: $vgpr18
.LBB0_531:                              ;   in Loop: Header=BB0_377 Depth=2
	s_andn2_saveexec_b64 s[16:17], s[62:63]
; %bb.532:                              ;   in Loop: Header=BB0_377 Depth=2
	v_or_b32_sdwa v21, v18, s37 dst_sel:DWORD dst_unused:UNUSED_PAD src0_sel:BYTE_3 src1_sel:DWORD
; %bb.533:                              ;   in Loop: Header=BB0_377 Depth=2
	s_or_b64 exec, exec, s[16:17]
	v_lshrrev_b16_e32 v0, 8, v20
	v_cmp_ne_u16_e32 vcc, 0, v0
	v_mov_b32_e32 v18, 0
	v_mov_b32_e32 v19, 0
	s_and_saveexec_b64 s[16:17], vcc
	s_cbranch_execz .LBB0_539
; %bb.534:                              ;   in Loop: Header=BB0_377 Depth=2
	v_cmp_ne_u16_e32 vcc, s36, v0
	v_bfrev_b32_e32 v19, 1
	s_and_saveexec_b64 s[62:63], vcc
	s_cbranch_execz .LBB0_538
; %bb.535:                              ;   in Loop: Header=BB0_377 Depth=2
	v_and_b32_e32 v6, 0x7f, v0
	v_cmp_ne_u32_e32 vcc, s37, v6
	v_mov_b32_e32 v19, 0x7f800001
	s_and_saveexec_b64 s[72:73], vcc
	s_cbranch_execz .LBB0_537
; %bb.536:                              ;   in Loop: Header=BB0_377 Depth=2
	v_and_b32_e32 v19, 7, v0
	v_lshrrev_b32_e32 v33, 3, v6
	v_cmp_gt_u32_e32 vcc, 8, v6
	v_ffbh_u32_e32 v6, v19
	v_min_u32_e32 v6, 32, v6
	v_subrev_u32_e32 v30, 28, v6
	v_lshlrev_b64 v[30:31], v30, v[0:1]
	v_sub_u32_e32 v0, 29, v6
	v_and_b32_e32 v6, 7, v30
	v_cndmask_b32_e32 v0, v33, v0, vcc
	v_cndmask_b32_e32 v6, v19, v6, vcc
	v_lshlrev_b32_e32 v19, 16, v20
	v_lshlrev_b32_e32 v6, 20, v6
	v_and_b32_e32 v19, 0x80000000, v19
	v_lshl_add_u32 v0, v0, 23, v27
	v_or3_b32 v19, v19, v0, v6
.LBB0_537:                              ;   in Loop: Header=BB0_377 Depth=2
	s_or_b64 exec, exec, s[72:73]
.LBB0_538:                              ;   in Loop: Header=BB0_377 Depth=2
	s_or_b64 exec, exec, s[62:63]
.LBB0_539:                              ;   in Loop: Header=BB0_377 Depth=2
	s_or_b64 exec, exec, s[16:17]
	v_lshrrev_b16_e32 v0, 8, v42
	v_cmp_ne_u16_e32 vcc, 0, v0
	s_and_saveexec_b64 s[16:17], vcc
	s_cbranch_execz .LBB0_545
; %bb.540:                              ;   in Loop: Header=BB0_377 Depth=2
	v_cmp_ne_u16_e32 vcc, s36, v0
	v_bfrev_b32_e32 v18, 1
	s_and_saveexec_b64 s[62:63], vcc
	s_cbranch_execz .LBB0_544
; %bb.541:                              ;   in Loop: Header=BB0_377 Depth=2
	v_and_b32_e32 v6, 0x7f, v0
	v_cmp_ne_u32_e32 vcc, s37, v6
	v_mov_b32_e32 v18, 0x7f800001
	s_and_saveexec_b64 s[72:73], vcc
	s_cbranch_execz .LBB0_543
; %bb.542:                              ;   in Loop: Header=BB0_377 Depth=2
	v_and_b32_e32 v18, 7, v0
	v_lshrrev_b32_e32 v33, 3, v6
	v_cmp_gt_u32_e32 vcc, 8, v6
	v_ffbh_u32_e32 v6, v18
	v_min_u32_e32 v6, 32, v6
	v_subrev_u32_e32 v30, 28, v6
	v_lshlrev_b64 v[30:31], v30, v[0:1]
	v_sub_u32_e32 v0, 29, v6
	v_and_b32_e32 v6, 7, v30
	v_cndmask_b32_e32 v0, v33, v0, vcc
	v_cndmask_b32_e32 v6, v18, v6, vcc
	v_lshlrev_b32_e32 v18, 16, v42
	v_lshlrev_b32_e32 v6, 20, v6
	v_and_b32_e32 v18, 0x80000000, v18
	v_lshl_add_u32 v0, v0, 23, v27
	v_or3_b32 v18, v18, v0, v6
.LBB0_543:                              ;   in Loop: Header=BB0_377 Depth=2
	s_or_b64 exec, exec, s[72:73]
.LBB0_544:                              ;   in Loop: Header=BB0_377 Depth=2
	s_or_b64 exec, exec, s[62:63]
.LBB0_545:                              ;   in Loop: Header=BB0_377 Depth=2
	s_or_b64 exec, exec, s[16:17]
	v_mul_f32_e32 v18, v19, v18
	v_and_b32_e32 v30, 0x7f800000, v18
	v_mov_b32_e32 v31, v43
	v_cmp_ne_u64_e32 vcc, s[46:47], v[30:31]
                                        ; implicit-def: $vgpr33
	s_and_saveexec_b64 s[16:17], vcc
	s_xor_b64 s[62:63], exec, s[16:17]
	s_cbranch_execz .LBB0_559
; %bb.546:                              ;   in Loop: Header=BB0_377 Depth=2
	v_and_b32_e32 v30, 0x7fffffff, v18
	v_mov_b32_e32 v31, v43
	v_cmp_gt_u64_e32 vcc, s[56:57], v[30:31]
	v_and_b32_sdwa v0, v18, s36 dst_sel:DWORD dst_unused:UNUSED_PAD src0_sel:BYTE_3 src1_sel:DWORD
                                        ; implicit-def: $vgpr33
	s_and_saveexec_b64 s[16:17], vcc
	s_xor_b64 s[72:73], exec, s[16:17]
	s_cbranch_execz .LBB0_556
; %bb.547:                              ;   in Loop: Header=BB0_377 Depth=2
	v_mov_b32_e32 v33, 0
	v_cmp_ne_u32_e32 vcc, 0, v18
	s_and_saveexec_b64 s[74:75], vcc
	s_cbranch_execz .LBB0_555
; %bb.548:                              ;   in Loop: Header=BB0_377 Depth=2
	v_bfe_u32 v33, v18, 23, 8
	v_and_b32_e32 v6, 0x7fffff, v18
	v_cmp_gt_u32_e64 s[16:17], s38, v33
	v_sub_u32_e32 v18, 0x79, v33
	v_cmp_eq_u32_e32 vcc, 0, v33
	v_cndmask_b32_e64 v18, 0, v18, s[16:17]
	v_or_b32_e32 v19, 0x800000, v6
	v_cndmask_b32_e32 v34, v18, v5, vcc
	v_cndmask_b32_e32 v18, v19, v6, vcc
	v_add_u32_e32 v6, 20, v34
	v_lshlrev_b64 v[30:31], v6, -1
	v_mov_b32_e32 v19, v43
	v_add_u32_e32 v6, 19, v34
	v_bfi_b32 v30, v30, 0, v18
	v_lshlrev_b64 v[46:47], v6, 1
	v_lshrrev_b64 v[18:19], v34, v[18:19]
	v_bfi_b32 v31, v31, 0, 0
	v_cmp_eq_u64_e64 s[16:17], v[30:31], v[46:47]
	v_mov_b32_e32 v31, v19
	v_mov_b32_e32 v30, v18
	s_and_saveexec_b64 s[76:77], s[16:17]
; %bb.549:                              ;   in Loop: Header=BB0_377 Depth=2
	v_bfe_u32 v6, v18, 20, 1
	v_add_co_u32_e64 v6, s[16:17], v18, v6
	v_add_co_u32_e64 v30, s[16:17], -1, v6
; %bb.550:                              ;   in Loop: Header=BB0_377 Depth=2
	s_or_b64 exec, exec, s[76:77]
	v_add_u32_e32 v6, 0xffffff81, v33
	v_cndmask_b32_e32 v6, v6, v8, vcc
	v_lshrrev_b32_e32 v19, 23, v18
	v_add3_u32 v31, v34, v6, v19
	v_add_u32_e32 v6, 6, v31
	v_and_b32_e32 v19, 0xfffff, v30
	v_add_u32_e32 v18, v19, v18
	v_mov_b32_e32 v19, v43
	v_cmp_ne_u32_e32 vcc, 0, v6
                                        ; implicit-def: $vgpr30
	s_and_saveexec_b64 s[16:17], vcc
	s_xor_b64 s[16:17], exec, s[16:17]
; %bb.551:                              ;   in Loop: Header=BB0_377 Depth=2
	v_cmp_lt_u64_e32 vcc, s[58:59], v[18:19]
	v_add_u32_e32 v30, 7, v31
	v_cndmask_b32_e32 v30, v6, v30, vcc
	v_cndmask_b32_e64 v6, 0, 1, vcc
	v_lshrrev_b64 v[18:19], v6, v[18:19]
; %bb.552:                              ;   in Loop: Header=BB0_377 Depth=2
	s_andn2_saveexec_b64 s[16:17], s[16:17]
; %bb.553:                              ;   in Loop: Header=BB0_377 Depth=2
	v_bfe_u32 v30, v18, 23, 1
; %bb.554:                              ;   in Loop: Header=BB0_377 Depth=2
	s_or_b64 exec, exec, s[16:17]
	v_lshrrev_b64 v[18:19], 20, v[18:19]
	v_cmp_gt_i32_e32 vcc, 16, v30
	v_cndmask_b32_e32 v19, 0, v19, vcc
	v_cndmask_b32_e32 v18, 7, v18, vcc
	v_min_i32_e32 v6, 15, v30
	v_cmp_eq_u64_e64 s[16:17], 0, v[18:19]
	v_lshlrev_b32_e32 v6, 3, v6
	v_cmp_eq_u32_e32 vcc, 0, v30
	v_and_b32_e32 v6, 0xf8, v6
	v_and_or_b32 v6, v18, 7, v6
	s_and_b64 s[16:17], vcc, s[16:17]
	v_cndmask_b32_e64 v6, v6, 0, s[16:17]
	v_or_b32_e32 v33, v6, v0
.LBB0_555:                              ;   in Loop: Header=BB0_377 Depth=2
	s_or_b64 exec, exec, s[74:75]
                                        ; implicit-def: $vgpr0
.LBB0_556:                              ;   in Loop: Header=BB0_377 Depth=2
	s_andn2_saveexec_b64 s[16:17], s[72:73]
; %bb.557:                              ;   in Loop: Header=BB0_377 Depth=2
	v_or_b32_e32 v33, 0x7e, v0
; %bb.558:                              ;   in Loop: Header=BB0_377 Depth=2
	s_or_b64 exec, exec, s[16:17]
                                        ; implicit-def: $vgpr18
.LBB0_559:                              ;   in Loop: Header=BB0_377 Depth=2
	s_andn2_saveexec_b64 s[16:17], s[62:63]
; %bb.560:                              ;   in Loop: Header=BB0_377 Depth=2
	v_or_b32_sdwa v33, v18, s37 dst_sel:DWORD dst_unused:UNUSED_PAD src0_sel:BYTE_3 src1_sel:DWORD
; %bb.561:                              ;   in Loop: Header=BB0_377 Depth=2
	s_or_b64 exec, exec, s[16:17]
	v_lshrrev_b32_e32 v0, 16, v20
	v_cmp_ne_u16_sdwa s[62:63], v0, v43 src0_sel:BYTE_0 src1_sel:DWORD
	v_mov_b32_e32 v18, 0
	v_mov_b32_e32 v19, 0
	s_and_saveexec_b64 s[16:17], s[62:63]
	s_cbranch_execz .LBB0_567
; %bb.562:                              ;   in Loop: Header=BB0_377 Depth=2
	v_cmp_ne_u16_sdwa s[72:73], v0, s36 src0_sel:BYTE_0 src1_sel:DWORD
	v_bfrev_b32_e32 v19, 1
	s_and_saveexec_b64 s[62:63], s[72:73]
	s_cbranch_execz .LBB0_566
; %bb.563:                              ;   in Loop: Header=BB0_377 Depth=2
	v_bfe_u32 v6, v20, 16, 7
	v_cmp_ne_u32_e32 vcc, s37, v6
	v_mov_b32_e32 v19, 0x7f800001
	s_and_saveexec_b64 s[72:73], vcc
	s_cbranch_execz .LBB0_565
; %bb.564:                              ;   in Loop: Header=BB0_377 Depth=2
	v_and_b32_e32 v19, 7, v0
	v_lshrrev_b32_e32 v34, 3, v6
	v_cmp_gt_u32_e32 vcc, 8, v6
	v_ffbh_u32_e32 v6, v19
	v_min_u32_e32 v6, 32, v6
	v_subrev_u32_e32 v30, 28, v6
	v_lshlrev_b64 v[30:31], v30, v[0:1]
	v_sub_u32_e32 v6, 29, v6
	v_and_b32_e32 v30, 7, v30
	v_cndmask_b32_e32 v6, v34, v6, vcc
	v_cndmask_b32_e32 v19, v19, v30, vcc
	v_lshlrev_b32_e32 v0, 24, v0
	v_lshlrev_b32_e32 v19, 20, v19
	v_and_b32_e32 v0, 0x80000000, v0
	v_lshl_add_u32 v6, v6, 23, v27
	v_or3_b32 v19, v0, v6, v19
.LBB0_565:                              ;   in Loop: Header=BB0_377 Depth=2
	s_or_b64 exec, exec, s[72:73]
.LBB0_566:                              ;   in Loop: Header=BB0_377 Depth=2
	s_or_b64 exec, exec, s[62:63]
.LBB0_567:                              ;   in Loop: Header=BB0_377 Depth=2
	s_or_b64 exec, exec, s[16:17]
	v_and_b32_sdwa v6, v42, s35 dst_sel:DWORD dst_unused:UNUSED_PAD src0_sel:WORD_1 src1_sel:DWORD
	v_lshrrev_b32_e32 v0, 16, v42
	v_cmp_ne_u16_e32 vcc, 0, v6
	s_and_saveexec_b64 s[16:17], vcc
	s_cbranch_execz .LBB0_573
; %bb.568:                              ;   in Loop: Header=BB0_377 Depth=2
	v_cmp_ne_u16_e32 vcc, s36, v6
	v_bfrev_b32_e32 v18, 1
	s_and_saveexec_b64 s[62:63], vcc
	s_cbranch_execz .LBB0_572
; %bb.569:                              ;   in Loop: Header=BB0_377 Depth=2
	v_bfe_u32 v6, v42, 16, 7
	v_cmp_ne_u32_e32 vcc, s37, v6
	v_mov_b32_e32 v18, 0x7f800001
	s_and_saveexec_b64 s[72:73], vcc
	s_cbranch_execz .LBB0_571
; %bb.570:                              ;   in Loop: Header=BB0_377 Depth=2
	v_and_b32_e32 v18, 7, v0
	v_lshrrev_b32_e32 v34, 3, v6
	v_cmp_gt_u32_e32 vcc, 8, v6
	v_ffbh_u32_e32 v6, v18
	v_min_u32_e32 v6, 32, v6
	v_subrev_u32_e32 v30, 28, v6
	v_lshlrev_b64 v[30:31], v30, v[0:1]
	v_sub_u32_e32 v0, 29, v6
	v_and_b32_e32 v6, 7, v30
	v_cndmask_b32_e32 v0, v34, v0, vcc
	v_cndmask_b32_e32 v6, v18, v6, vcc
	v_lshlrev_b32_e32 v18, 8, v42
	v_lshlrev_b32_e32 v6, 20, v6
	v_and_b32_e32 v18, 0x80000000, v18
	v_lshl_add_u32 v0, v0, 23, v27
	v_or3_b32 v18, v18, v0, v6
.LBB0_571:                              ;   in Loop: Header=BB0_377 Depth=2
	s_or_b64 exec, exec, s[72:73]
.LBB0_572:                              ;   in Loop: Header=BB0_377 Depth=2
	s_or_b64 exec, exec, s[62:63]
.LBB0_573:                              ;   in Loop: Header=BB0_377 Depth=2
	s_or_b64 exec, exec, s[16:17]
	v_mul_f32_e32 v18, v19, v18
	v_and_b32_e32 v30, 0x7f800000, v18
	v_mov_b32_e32 v31, v43
	v_cmp_ne_u64_e32 vcc, s[46:47], v[30:31]
                                        ; implicit-def: $vgpr30
	s_and_saveexec_b64 s[16:17], vcc
	s_xor_b64 s[62:63], exec, s[16:17]
	s_cbranch_execz .LBB0_587
; %bb.574:                              ;   in Loop: Header=BB0_377 Depth=2
	v_and_b32_e32 v30, 0x7fffffff, v18
	v_mov_b32_e32 v31, v43
	v_cmp_gt_u64_e32 vcc, s[56:57], v[30:31]
	v_and_b32_sdwa v0, v18, s36 dst_sel:DWORD dst_unused:UNUSED_PAD src0_sel:BYTE_3 src1_sel:DWORD
                                        ; implicit-def: $vgpr30
	s_and_saveexec_b64 s[16:17], vcc
	s_xor_b64 s[72:73], exec, s[16:17]
	s_cbranch_execz .LBB0_584
; %bb.575:                              ;   in Loop: Header=BB0_377 Depth=2
	v_mov_b32_e32 v30, 0
	v_cmp_ne_u32_e32 vcc, 0, v18
	s_and_saveexec_b64 s[74:75], vcc
	s_cbranch_execz .LBB0_583
; %bb.576:                              ;   in Loop: Header=BB0_377 Depth=2
	v_bfe_u32 v34, v18, 23, 8
	v_and_b32_e32 v6, 0x7fffff, v18
	v_cmp_gt_u32_e64 s[16:17], s38, v34
	v_sub_u32_e32 v18, 0x79, v34
	v_cmp_eq_u32_e32 vcc, 0, v34
	v_cndmask_b32_e64 v18, 0, v18, s[16:17]
	v_or_b32_e32 v19, 0x800000, v6
	v_cndmask_b32_e32 v35, v18, v5, vcc
	v_cndmask_b32_e32 v18, v19, v6, vcc
	v_add_u32_e32 v6, 20, v35
	v_lshlrev_b64 v[30:31], v6, -1
	v_mov_b32_e32 v19, v43
	v_add_u32_e32 v6, 19, v35
	v_bfi_b32 v30, v30, 0, v18
	v_lshlrev_b64 v[46:47], v6, 1
	v_lshrrev_b64 v[18:19], v35, v[18:19]
	v_bfi_b32 v31, v31, 0, 0
	v_cmp_eq_u64_e64 s[16:17], v[30:31], v[46:47]
	v_mov_b32_e32 v31, v19
	v_mov_b32_e32 v30, v18
	s_and_saveexec_b64 s[76:77], s[16:17]
; %bb.577:                              ;   in Loop: Header=BB0_377 Depth=2
	v_bfe_u32 v6, v18, 20, 1
	v_add_co_u32_e64 v6, s[16:17], v18, v6
	v_add_co_u32_e64 v30, s[16:17], -1, v6
; %bb.578:                              ;   in Loop: Header=BB0_377 Depth=2
	s_or_b64 exec, exec, s[76:77]
	v_add_u32_e32 v6, 0xffffff81, v34
	v_cndmask_b32_e32 v6, v6, v8, vcc
	v_lshrrev_b32_e32 v19, 23, v18
	v_add3_u32 v31, v35, v6, v19
	v_add_u32_e32 v6, 6, v31
	v_and_b32_e32 v19, 0xfffff, v30
	v_add_u32_e32 v18, v19, v18
	v_mov_b32_e32 v19, v43
	v_cmp_ne_u32_e32 vcc, 0, v6
                                        ; implicit-def: $vgpr30
	s_and_saveexec_b64 s[16:17], vcc
	s_xor_b64 s[16:17], exec, s[16:17]
; %bb.579:                              ;   in Loop: Header=BB0_377 Depth=2
	v_cmp_lt_u64_e32 vcc, s[58:59], v[18:19]
	v_add_u32_e32 v30, 7, v31
	v_cndmask_b32_e32 v30, v6, v30, vcc
	v_cndmask_b32_e64 v6, 0, 1, vcc
	v_lshrrev_b64 v[18:19], v6, v[18:19]
; %bb.580:                              ;   in Loop: Header=BB0_377 Depth=2
	s_andn2_saveexec_b64 s[16:17], s[16:17]
; %bb.581:                              ;   in Loop: Header=BB0_377 Depth=2
	v_bfe_u32 v30, v18, 23, 1
; %bb.582:                              ;   in Loop: Header=BB0_377 Depth=2
	s_or_b64 exec, exec, s[16:17]
	v_lshrrev_b64 v[18:19], 20, v[18:19]
	v_cmp_gt_i32_e32 vcc, 16, v30
	v_cndmask_b32_e32 v19, 0, v19, vcc
	v_cndmask_b32_e32 v18, 7, v18, vcc
	v_min_i32_e32 v6, 15, v30
	v_cmp_eq_u64_e64 s[16:17], 0, v[18:19]
	v_lshlrev_b32_e32 v6, 3, v6
	v_cmp_eq_u32_e32 vcc, 0, v30
	v_and_b32_e32 v6, 0xf8, v6
	v_and_or_b32 v6, v18, 7, v6
	s_and_b64 s[16:17], vcc, s[16:17]
	v_cndmask_b32_e64 v6, v6, 0, s[16:17]
	v_or_b32_e32 v30, v6, v0
.LBB0_583:                              ;   in Loop: Header=BB0_377 Depth=2
	s_or_b64 exec, exec, s[74:75]
                                        ; implicit-def: $vgpr0
.LBB0_584:                              ;   in Loop: Header=BB0_377 Depth=2
	s_andn2_saveexec_b64 s[16:17], s[72:73]
; %bb.585:                              ;   in Loop: Header=BB0_377 Depth=2
	v_or_b32_e32 v30, 0x7e, v0
; %bb.586:                              ;   in Loop: Header=BB0_377 Depth=2
	s_or_b64 exec, exec, s[16:17]
                                        ; implicit-def: $vgpr18
.LBB0_587:                              ;   in Loop: Header=BB0_377 Depth=2
	s_andn2_saveexec_b64 s[16:17], s[62:63]
; %bb.588:                              ;   in Loop: Header=BB0_377 Depth=2
	v_or_b32_sdwa v30, v18, s37 dst_sel:DWORD dst_unused:UNUSED_PAD src0_sel:BYTE_3 src1_sel:DWORD
; %bb.589:                              ;   in Loop: Header=BB0_377 Depth=2
	s_or_b64 exec, exec, s[16:17]
	v_and_b32_e32 v18, 0xff000000, v20
	v_mov_b32_e32 v19, v43
	v_cmp_ne_u64_e32 vcc, 0, v[18:19]
	v_mov_b32_e32 v18, 0
	v_mov_b32_e32 v19, 0
	s_and_saveexec_b64 s[16:17], vcc
	s_cbranch_execz .LBB0_595
; %bb.590:                              ;   in Loop: Header=BB0_377 Depth=2
	v_lshrrev_b32_e32 v0, 24, v20
	v_cmp_ne_u32_e32 vcc, s36, v0
	v_bfrev_b32_e32 v19, 1
	s_and_saveexec_b64 s[62:63], vcc
	s_cbranch_execz .LBB0_594
; %bb.591:                              ;   in Loop: Header=BB0_377 Depth=2
	v_bfe_u32 v6, v20, 24, 7
	v_cmp_ne_u32_e32 vcc, s37, v6
	v_mov_b32_e32 v19, 0x7f800001
	s_and_saveexec_b64 s[72:73], vcc
	s_cbranch_execz .LBB0_593
; %bb.592:                              ;   in Loop: Header=BB0_377 Depth=2
	v_and_b32_e32 v31, 7, v0
	v_lshrrev_b32_e32 v34, 3, v6
	v_cmp_gt_u32_e32 vcc, 8, v6
	v_ffbh_u32_e32 v6, v31
	v_min_u32_e32 v6, 32, v6
	v_subrev_u32_e32 v19, 28, v6
	v_lshlrev_b64 v[19:20], v19, v[0:1]
	v_sub_u32_e32 v6, 29, v6
	v_and_b32_e32 v19, 7, v19
	v_cndmask_b32_e32 v6, v34, v6, vcc
	v_cndmask_b32_e32 v19, v31, v19, vcc
	v_lshlrev_b32_e32 v0, 24, v0
	v_lshlrev_b32_e32 v19, 20, v19
	v_and_b32_e32 v0, 0x80000000, v0
	v_lshl_add_u32 v6, v6, 23, v27
	v_or3_b32 v19, v0, v6, v19
.LBB0_593:                              ;   in Loop: Header=BB0_377 Depth=2
	s_or_b64 exec, exec, s[72:73]
.LBB0_594:                              ;   in Loop: Header=BB0_377 Depth=2
	s_or_b64 exec, exec, s[62:63]
.LBB0_595:                              ;   in Loop: Header=BB0_377 Depth=2
	s_or_b64 exec, exec, s[16:17]
	v_cmp_lt_u32_e32 vcc, s39, v42
	s_and_saveexec_b64 s[16:17], vcc
	s_cbranch_execz .LBB0_601
; %bb.596:                              ;   in Loop: Header=BB0_377 Depth=2
	v_lshrrev_b32_e32 v0, 24, v42
	v_cmp_ne_u32_sdwa s[72:73], v42, s36 src0_sel:BYTE_3 src1_sel:DWORD
	v_bfrev_b32_e32 v18, 1
	s_and_saveexec_b64 s[62:63], s[72:73]
	s_cbranch_execz .LBB0_600
; %bb.597:                              ;   in Loop: Header=BB0_377 Depth=2
	v_bfe_u32 v6, v42, 24, 7
	v_cmp_ne_u32_e32 vcc, s37, v6
	v_mov_b32_e32 v18, 0x7f800001
	s_and_saveexec_b64 s[72:73], vcc
	s_cbranch_execz .LBB0_599
; %bb.598:                              ;   in Loop: Header=BB0_377 Depth=2
	v_and_b32_e32 v18, 7, v0
	v_lshrrev_b32_e32 v20, 3, v6
	v_cmp_gt_u32_e32 vcc, 8, v6
	v_ffbh_u32_e32 v6, v18
	v_min_u32_e32 v6, 32, v6
	v_subrev_u32_e32 v31, 28, v6
	v_lshlrev_b64 v[34:35], v31, v[0:1]
	v_sub_u32_e32 v0, 29, v6
	v_and_b32_e32 v6, 7, v34
	v_cndmask_b32_e32 v0, v20, v0, vcc
	v_cndmask_b32_e32 v6, v18, v6, vcc
	v_lshlrev_b32_sdwa v18, v9, v42 dst_sel:DWORD dst_unused:UNUSED_PAD src0_sel:DWORD src1_sel:BYTE_3
	v_lshlrev_b32_e32 v6, 20, v6
	v_and_b32_e32 v18, 0x80000000, v18
	v_lshl_add_u32 v0, v0, 23, v27
	v_or3_b32 v18, v18, v0, v6
.LBB0_599:                              ;   in Loop: Header=BB0_377 Depth=2
	s_or_b64 exec, exec, s[72:73]
.LBB0_600:                              ;   in Loop: Header=BB0_377 Depth=2
	s_or_b64 exec, exec, s[62:63]
.LBB0_601:                              ;   in Loop: Header=BB0_377 Depth=2
	s_or_b64 exec, exec, s[16:17]
	v_mul_f32_e32 v18, v19, v18
	v_and_b32_e32 v42, 0x7f800000, v18
	v_cmp_ne_u64_e32 vcc, s[46:47], v[42:43]
                                        ; implicit-def: $vgpr19
	s_and_saveexec_b64 s[16:17], vcc
	s_xor_b64 s[62:63], exec, s[16:17]
	s_cbranch_execz .LBB0_615
; %bb.602:                              ;   in Loop: Header=BB0_377 Depth=2
	v_and_b32_e32 v42, 0x7fffffff, v18
	v_cmp_gt_u64_e32 vcc, s[56:57], v[42:43]
	v_and_b32_sdwa v0, v18, s36 dst_sel:DWORD dst_unused:UNUSED_PAD src0_sel:BYTE_3 src1_sel:DWORD
                                        ; implicit-def: $vgpr19
	s_and_saveexec_b64 s[16:17], vcc
	s_xor_b64 s[72:73], exec, s[16:17]
	s_cbranch_execz .LBB0_612
; %bb.603:                              ;   in Loop: Header=BB0_377 Depth=2
	v_mov_b32_e32 v19, 0
	v_cmp_ne_u32_e32 vcc, 0, v18
	s_and_saveexec_b64 s[74:75], vcc
	s_cbranch_execz .LBB0_611
; %bb.604:                              ;   in Loop: Header=BB0_377 Depth=2
	v_bfe_u32 v31, v18, 23, 8
	v_and_b32_e32 v6, 0x7fffff, v18
	v_cmp_gt_u32_e64 s[16:17], s38, v31
	v_sub_u32_e32 v18, 0x79, v31
	v_cmp_eq_u32_e32 vcc, 0, v31
	v_cndmask_b32_e64 v18, 0, v18, s[16:17]
	v_or_b32_e32 v19, 0x800000, v6
	v_cndmask_b32_e32 v34, v18, v5, vcc
	v_cndmask_b32_e32 v42, v19, v6, vcc
	v_add_u32_e32 v6, 20, v34
	v_lshlrev_b64 v[18:19], v6, -1
	v_add_u32_e32 v6, 19, v34
	v_lshlrev_b64 v[46:47], v6, 1
	v_bfi_b32 v19, v19, 0, 0
	v_bfi_b32 v18, v18, 0, v42
	v_cmp_eq_u64_e64 s[16:17], v[18:19], v[46:47]
	v_lshrrev_b64 v[18:19], v34, v[42:43]
	v_mov_b32_e32 v20, v19
	v_mov_b32_e32 v19, v18
	s_and_saveexec_b64 s[76:77], s[16:17]
; %bb.605:                              ;   in Loop: Header=BB0_377 Depth=2
	v_bfe_u32 v6, v18, 20, 1
	v_add_co_u32_e64 v6, s[16:17], v18, v6
	v_add_co_u32_e64 v19, s[16:17], -1, v6
; %bb.606:                              ;   in Loop: Header=BB0_377 Depth=2
	s_or_b64 exec, exec, s[76:77]
	v_add_u32_e32 v6, 0xffffff81, v31
	v_cndmask_b32_e32 v6, v6, v8, vcc
	v_lshrrev_b32_e32 v20, 23, v18
	v_add3_u32 v31, v34, v6, v20
	v_add_u32_e32 v6, 6, v31
	v_and_b32_e32 v19, 0xfffff, v19
	v_add_u32_e32 v42, v19, v18
	v_cmp_ne_u32_e32 vcc, 0, v6
                                        ; implicit-def: $vgpr18_vgpr19
                                        ; implicit-def: $vgpr20
	s_and_saveexec_b64 s[16:17], vcc
	s_xor_b64 s[16:17], exec, s[16:17]
; %bb.607:                              ;   in Loop: Header=BB0_377 Depth=2
	v_cmp_lt_u64_e32 vcc, s[58:59], v[42:43]
	v_add_u32_e32 v18, 7, v31
	v_cndmask_b32_e32 v20, v6, v18, vcc
	v_cndmask_b32_e64 v6, 0, 1, vcc
	v_lshrrev_b64 v[18:19], v6, v[42:43]
; %bb.608:                              ;   in Loop: Header=BB0_377 Depth=2
	s_andn2_saveexec_b64 s[16:17], s[16:17]
; %bb.609:                              ;   in Loop: Header=BB0_377 Depth=2
	v_mov_b32_e32 v18, v42
	v_bfe_u32 v20, v42, 23, 1
	v_mov_b32_e32 v19, v43
; %bb.610:                              ;   in Loop: Header=BB0_377 Depth=2
	s_or_b64 exec, exec, s[16:17]
	v_lshrrev_b64 v[18:19], 20, v[18:19]
	v_cmp_gt_i32_e32 vcc, 16, v20
	v_cndmask_b32_e32 v19, 0, v19, vcc
	v_cndmask_b32_e32 v18, 7, v18, vcc
	v_min_i32_e32 v6, 15, v20
	v_cmp_eq_u64_e64 s[16:17], 0, v[18:19]
	v_lshlrev_b32_e32 v6, 3, v6
	v_cmp_eq_u32_e32 vcc, 0, v20
	v_and_b32_e32 v6, 0xf8, v6
	v_and_or_b32 v6, v18, 7, v6
	s_and_b64 s[16:17], vcc, s[16:17]
	v_cndmask_b32_e64 v6, v6, 0, s[16:17]
	v_or_b32_e32 v19, v6, v0
.LBB0_611:                              ;   in Loop: Header=BB0_377 Depth=2
	s_or_b64 exec, exec, s[74:75]
                                        ; implicit-def: $vgpr0
.LBB0_612:                              ;   in Loop: Header=BB0_377 Depth=2
	s_andn2_saveexec_b64 s[16:17], s[72:73]
; %bb.613:                              ;   in Loop: Header=BB0_377 Depth=2
	v_or_b32_e32 v19, 0x7e, v0
; %bb.614:                              ;   in Loop: Header=BB0_377 Depth=2
	s_or_b64 exec, exec, s[16:17]
                                        ; implicit-def: $vgpr18
.LBB0_615:                              ;   in Loop: Header=BB0_377 Depth=2
	s_andn2_saveexec_b64 s[16:17], s[62:63]
; %bb.616:                              ;   in Loop: Header=BB0_377 Depth=2
	v_or_b32_sdwa v19, v18, s37 dst_sel:DWORD dst_unused:UNUSED_PAD src0_sel:BYTE_3 src1_sel:DWORD
; %bb.617:                              ;   in Loop: Header=BB0_377 Depth=2
	s_or_b64 exec, exec, s[16:17]
	v_lshlrev_b32_e32 v0, 16, v11
	v_lshlrev_b32_e32 v6, 24, v32
	v_lshl_or_b32 v0, v10, 8, v0
	v_or3_b32 v18, v0, v6, v7
	v_lshlrev_b32_e32 v6, 16, v30
	v_lshlrev_b32_e32 v0, 24, v19
	v_lshl_or_b32 v6, v33, 8, v6
	v_cmp_lt_u32_e32 vcc, 7, v26
	v_or3_b32 v19, v6, v0, v21
	s_cmp_lg_u64 vcc, exec
	s_mov_b64 s[16:17], -1
	s_cbranch_scc0 .LBB0_627
; %bb.618:                              ;   in Loop: Header=BB0_377 Depth=2
	v_cmp_ne_u32_e64 s[16:17], 1, v26
	flat_store_byte v[56:57], v7
	s_and_saveexec_b64 s[62:63], s[16:17]
	s_cbranch_execz .LBB0_629
; %bb.619:                              ;   in Loop: Header=BB0_377 Depth=2
	v_lshrrev_b32_e32 v0, 8, v18
	flat_store_byte v[56:57], v0 offset:1
	s_or_b64 exec, exec, s[62:63]
	v_cmp_lt_u32_e64 s[16:17], 2, v26
	s_and_saveexec_b64 s[62:63], s[16:17]
	s_cbranch_execnz .LBB0_630
.LBB0_620:                              ;   in Loop: Header=BB0_377 Depth=2
	s_or_b64 exec, exec, s[62:63]
	v_cmp_lt_u32_e64 s[16:17], 3, v26
	s_and_saveexec_b64 s[62:63], s[16:17]
	s_cbranch_execz .LBB0_631
.LBB0_621:                              ;   in Loop: Header=BB0_377 Depth=2
	v_lshrrev_b32_e32 v0, 24, v18
	flat_store_byte v[56:57], v0 offset:3
	s_or_b64 exec, exec, s[62:63]
	v_cmp_lt_u32_e64 s[16:17], 4, v26
	s_and_saveexec_b64 s[62:63], s[16:17]
	s_cbranch_execnz .LBB0_632
.LBB0_622:                              ;   in Loop: Header=BB0_377 Depth=2
	s_or_b64 exec, exec, s[62:63]
	v_cmp_lt_u32_e64 s[16:17], 5, v26
	s_and_saveexec_b64 s[62:63], s[16:17]
	s_cbranch_execz .LBB0_633
.LBB0_623:                              ;   in Loop: Header=BB0_377 Depth=2
	v_lshrrev_b32_e32 v0, 8, v19
	flat_store_byte v[56:57], v0 offset:5
	s_or_b64 exec, exec, s[62:63]
	v_cmp_lt_u32_e64 s[16:17], 6, v26
	s_and_saveexec_b64 s[62:63], s[16:17]
	s_cbranch_execnz .LBB0_634
.LBB0_624:                              ;   in Loop: Header=BB0_377 Depth=2
	s_or_b64 exec, exec, s[62:63]
	s_and_saveexec_b64 s[16:17], vcc
	s_cbranch_execz .LBB0_626
.LBB0_625:                              ;   in Loop: Header=BB0_377 Depth=2
	v_lshrrev_b32_e32 v0, 24, v19
	flat_store_byte v[56:57], v0 offset:7
.LBB0_626:                              ;   in Loop: Header=BB0_377 Depth=2
	s_or_b64 exec, exec, s[16:17]
	s_mov_b64 s[16:17], 0
.LBB0_627:                              ;   in Loop: Header=BB0_377 Depth=2
	s_and_b64 vcc, exec, s[16:17]
	s_cbranch_vccz .LBB0_376
; %bb.628:                              ;   in Loop: Header=BB0_377 Depth=2
	global_store_dwordx2 v[56:57], v[18:19], off
	s_branch .LBB0_376
.LBB0_629:                              ;   in Loop: Header=BB0_377 Depth=2
	s_or_b64 exec, exec, s[62:63]
	v_cmp_lt_u32_e64 s[16:17], 2, v26
	s_and_saveexec_b64 s[62:63], s[16:17]
	s_cbranch_execz .LBB0_620
.LBB0_630:                              ;   in Loop: Header=BB0_377 Depth=2
	flat_store_byte_d16_hi v[56:57], v18 offset:2
	s_or_b64 exec, exec, s[62:63]
	v_cmp_lt_u32_e64 s[16:17], 3, v26
	s_and_saveexec_b64 s[62:63], s[16:17]
	s_cbranch_execnz .LBB0_621
.LBB0_631:                              ;   in Loop: Header=BB0_377 Depth=2
	s_or_b64 exec, exec, s[62:63]
	v_cmp_lt_u32_e64 s[16:17], 4, v26
	s_and_saveexec_b64 s[62:63], s[16:17]
	s_cbranch_execz .LBB0_622
.LBB0_632:                              ;   in Loop: Header=BB0_377 Depth=2
	flat_store_byte v[56:57], v21 offset:4
	s_or_b64 exec, exec, s[62:63]
	v_cmp_lt_u32_e64 s[16:17], 5, v26
	s_and_saveexec_b64 s[62:63], s[16:17]
	s_cbranch_execnz .LBB0_623
.LBB0_633:                              ;   in Loop: Header=BB0_377 Depth=2
	s_or_b64 exec, exec, s[62:63]
	v_cmp_lt_u32_e64 s[16:17], 6, v26
	s_and_saveexec_b64 s[62:63], s[16:17]
	s_cbranch_execz .LBB0_624
.LBB0_634:                              ;   in Loop: Header=BB0_377 Depth=2
	flat_store_byte_d16_hi v[56:57], v19 offset:6
	s_or_b64 exec, exec, s[62:63]
	s_and_saveexec_b64 s[16:17], vcc
	s_cbranch_execnz .LBB0_625
	s_branch .LBB0_626
.LBB0_635:                              ;   in Loop: Header=BB0_21 Depth=1
	s_or_b64 exec, exec, s[60:61]
	buffer_load_dword v34, off, s[0:3], s32 offset:156 ; 4-byte Folded Reload
	buffer_load_dword v50, off, s[0:3], s32 offset:100 ; 4-byte Folded Reload
	;; [unrolled: 1-line block ×3, first 2 shown]
.LBB0_636:                              ;   in Loop: Header=BB0_21 Depth=1
	s_or_b64 exec, exec, s[18:19]
	buffer_load_dword v18, off, s[0:3], s32 offset:116 ; 4-byte Folded Reload
	buffer_load_dword v19, off, s[0:3], s32 offset:120 ; 4-byte Folded Reload
	;; [unrolled: 1-line block ×6, first 2 shown]
	s_waitcnt vmcnt(0)
	v_mov_b32_e32 v10, v20
	v_mov_b32_e32 v11, v21
	s_and_saveexec_b64 s[16:17], s[10:11]
	s_cbranch_execz .LBB0_655
; %bb.637:                              ;   in Loop: Header=BB0_21 Depth=1
	s_and_saveexec_b64 s[18:19], s[40:41]
	s_xor_b64 s[18:19], exec, s[18:19]
	s_cbranch_execz .LBB0_652
; %bb.638:                              ;   in Loop: Header=BB0_21 Depth=1
	s_and_saveexec_b64 s[60:61], s[12:13]
	s_cbranch_execz .LBB0_651
; %bb.639:                              ;   in Loop: Header=BB0_21 Depth=1
	s_mov_b64 s[72:73], exec
	s_waitcnt lgkmcnt(0)
	v_mbcnt_lo_u32_b32 v0, s72, 0
	v_mbcnt_hi_u32_b32 v0, s73, v0
	v_cmp_eq_u32_e32 vcc, 0, v0
	buffer_wbinvl1_vol
	s_and_saveexec_b64 s[62:63], vcc
	s_cbranch_execz .LBB0_641
; %bb.640:                              ;   in Loop: Header=BB0_21 Depth=1
	s_bcnt1_i32_b64 s26, s[72:73]
	v_mov_b32_e32 v42, s26
	ds_add_u64 v0, v[42:43]
	s_trap 2
.LBB0_641:                              ;   in Loop: Header=BB0_21 Depth=1
	s_or_b64 exec, exec, s[62:63]
	s_trap 2
	ds_read_b64 v[6:7], v0
	s_waitcnt lgkmcnt(0)
	buffer_load_dword v0, off, s[0:3], s32 offset:96 ; 4-byte Folded Reload
	s_waitcnt vmcnt(0)
	v_add_co_u32_e32 v2, vcc, v2, v0
	v_addc_co_u32_e32 v3, vcc, 0, v3, vcc
	v_cmp_lt_u64_e32 vcc, v[6:7], v[2:3]
	s_and_saveexec_b64 s[62:63], vcc
	s_cbranch_execz .LBB0_650
; %bb.642:                              ;   in Loop: Header=BB0_21 Depth=1
	s_mov_b32 s26, 0
	s_mov_b64 s[72:73], 0
                                        ; implicit-def: $sgpr74_sgpr75
                                        ; implicit-def: $sgpr76_sgpr77
	s_branch .LBB0_644
.LBB0_643:                              ;   in Loop: Header=BB0_644 Depth=2
	s_or_b64 exec, exec, s[88:89]
	s_and_b64 s[78:79], exec, s[90:91]
	s_or_b64 s[72:73], s[78:79], s[72:73]
	s_andn2_b64 s[74:75], s[74:75], exec
	s_and_b64 s[78:79], s[76:77], exec
	s_or_b64 s[74:75], s[74:75], s[78:79]
	s_andn2_b64 exec, exec, s[72:73]
	s_cbranch_execz .LBB0_648
.LBB0_644:                              ;   Parent Loop BB0_21 Depth=1
                                        ; =>  This Inner Loop Header: Depth=2
	s_add_i32 s26, s26, 1
	s_cmpk_lg_i32 s26, 0x2710
	s_cselect_b64 s[78:79], -1, 0
	s_and_b64 vcc, exec, s[78:79]
	s_cbranch_vccz .LBB0_646
; %bb.645:                              ;   in Loop: Header=BB0_644 Depth=2
	s_mov_b64 s[90:91], -1
	s_or_b64 s[76:77], s[76:77], exec
	s_and_saveexec_b64 s[88:89], s[78:79]
	s_cbranch_execz .LBB0_643
	s_branch .LBB0_647
.LBB0_646:                              ;   in Loop: Header=BB0_644 Depth=2
	s_trap 2
	ds_read_b64 v[6:7], v0
	s_andn2_b64 s[78:79], s[78:79], exec
	s_mov_b32 s26, 0
	s_waitcnt lgkmcnt(0)
	flat_load_dword v0, v[6:7] glc
	s_waitcnt vmcnt(0) lgkmcnt(0)
	buffer_wbinvl1_vol
	v_cmp_eq_u32_e32 vcc, 0, v0
	s_and_b64 s[88:89], vcc, exec
	s_or_b64 s[78:79], s[78:79], s[88:89]
	s_mov_b64 s[90:91], -1
	s_or_b64 s[76:77], s[76:77], exec
	s_and_saveexec_b64 s[88:89], s[78:79]
	s_cbranch_execz .LBB0_643
.LBB0_647:                              ;   in Loop: Header=BB0_644 Depth=2
	s_sleep 1
	s_trap 2
	ds_read_b64 v[6:7], v0
	s_waitcnt lgkmcnt(0)
	s_andn2_b64 s[76:77], s[76:77], exec
	v_cmp_ge_u64_e32 vcc, v[6:7], v[2:3]
	s_orn2_b64 s[90:91], vcc, exec
	s_branch .LBB0_643
.LBB0_648:                              ;   in Loop: Header=BB0_21 Depth=1
	s_or_b64 exec, exec, s[72:73]
	s_and_saveexec_b64 s[72:73], s[74:75]
	s_xor_b64 s[72:73], exec, s[72:73]
	s_cbranch_execz .LBB0_650
; %bb.649:                              ;   in Loop: Header=BB0_21 Depth=1
	v_mov_b32_e32 v0, 1
	ds_write_b32 v0, v0
	s_trap 2
.LBB0_650:                              ;   in Loop: Header=BB0_21 Depth=1
	s_or_b64 exec, exec, s[62:63]
	;;#ASMSTART
	s_wakeup
	;;#ASMEND
.LBB0_651:                              ;   in Loop: Header=BB0_21 Depth=1
	s_or_b64 exec, exec, s[60:61]
.LBB0_652:                              ;   in Loop: Header=BB0_21 Depth=1
	s_andn2_saveexec_b64 s[18:19], s[18:19]
	s_cbranch_execz .LBB0_654
; %bb.653:                              ;   in Loop: Header=BB0_21 Depth=1
	s_waitcnt lgkmcnt(0)
	buffer_wbinvl1_vol
	s_barrier
.LBB0_654:                              ;   in Loop: Header=BB0_21 Depth=1
	s_or_b64 exec, exec, s[18:19]
.LBB0_655:                              ;   in Loop: Header=BB0_21 Depth=1
	s_or_b64 exec, exec, s[16:17]
	s_and_saveexec_b64 s[16:17], s[14:15]
	s_cbranch_execz .LBB0_20
; %bb.656:                              ;   in Loop: Header=BB0_21 Depth=1
	buffer_load_dword v6, off, s[0:3], s32 offset:68 ; 4-byte Folded Reload
	buffer_load_dword v7, off, s[0:3], s32 offset:72 ; 4-byte Folded Reload
	v_add_co_u32_e32 v48, vcc, 1, v48
	v_addc_co_u32_e32 v49, vcc, 0, v49, vcc
	s_waitcnt vmcnt(0)
	flat_store_dwordx2 v[6:7], v[48:49]
	s_branch .LBB0_20
.LBB0_657:
	s_or_b64 exec, exec, s[28:29]
	buffer_load_dword v31, off, s[0:3], s32 offset:212 ; 4-byte Folded Reload
	buffer_load_dword v12, off, s[0:3], s32 offset:216 ; 4-byte Folded Reload
	;; [unrolled: 1-line block ×6, first 2 shown]
.LBB0_658:
	s_or_b64 exec, exec, s[24:25]
	s_and_saveexec_b64 s[6:7], s[22:23]
	s_cbranch_execz .LBB0_661
; %bb.659:
	s_waitcnt vmcnt(0) lgkmcnt(0)
	flat_store_dwordx2 v[28:29], v[48:49] offset:104
	s_or_b64 exec, exec, s[6:7]
	s_and_saveexec_b64 s[6:7], s[4:5]
	s_cbranch_execnz .LBB0_662
.LBB0_660:
	s_or_b64 exec, exec, s[6:7]
	v_cmp_ne_u32_e32 vcc, 64, v1
	s_and_saveexec_b64 s[4:5], vcc
	s_cbranch_execnz .LBB0_663
	s_branch .LBB0_680
.LBB0_661:
	s_or_b64 exec, exec, s[6:7]
	s_and_saveexec_b64 s[6:7], s[4:5]
	s_cbranch_execz .LBB0_660
.LBB0_662:
	s_waitcnt vmcnt(0) lgkmcnt(0)
	flat_store_dwordx2 v[26:27], v[16:17] offset:104
	s_or_b64 exec, exec, s[6:7]
	v_cmp_ne_u32_e32 vcc, 64, v1
	s_and_saveexec_b64 s[4:5], vcc
	s_cbranch_execz .LBB0_680
.LBB0_663:
	s_waitcnt vmcnt(0)
	v_cmp_ne_u32_sdwa s[6:7], v1, v12 src0_sel:DWORD src1_sel:WORD_0
	s_and_saveexec_b64 s[8:9], s[6:7]
	s_xor_b64 s[6:7], exec, s[8:9]
	s_cbranch_execz .LBB0_678
; %bb.664:
	s_waitcnt lgkmcnt(0)
	v_and_b32_e32 v0, 63, v31
	v_cmp_eq_u32_e32 vcc, 0, v0
	s_and_saveexec_b64 s[8:9], vcc
	s_cbranch_execz .LBB0_677
; %bb.665:
	s_mov_b64 s[12:13], exec
	v_mbcnt_lo_u32_b32 v0, s12, 0
	v_mbcnt_hi_u32_b32 v0, s13, v0
	v_cmp_eq_u32_e32 vcc, 0, v0
	buffer_wbinvl1_vol
	s_and_saveexec_b64 s[10:11], vcc
	s_cbranch_execz .LBB0_667
; %bb.666:
	s_bcnt1_i32_b64 s12, s[12:13]
	v_mov_b32_e32 v4, s12
	v_mov_b32_e32 v5, 0
	ds_add_u64 v0, v[4:5]
	s_trap 2
.LBB0_667:
	s_or_b64 exec, exec, s[10:11]
	v_lshrrev_b32_e32 v0, 6, v1
	s_trap 2
	ds_read_b64 v[4:5], v0
	s_waitcnt lgkmcnt(0)
	v_add_co_u32_e32 v0, vcc, v2, v0
	v_addc_co_u32_e32 v1, vcc, 0, v3, vcc
	v_cmp_lt_u64_e32 vcc, v[4:5], v[0:1]
	s_and_saveexec_b64 s[10:11], vcc
	s_cbranch_execz .LBB0_676
; %bb.668:
	s_mov_b32 s24, 0
	s_mov_b64 s[12:13], 0
                                        ; implicit-def: $sgpr14_sgpr15
                                        ; implicit-def: $sgpr16_sgpr17
	s_branch .LBB0_670
.LBB0_669:                              ;   in Loop: Header=BB0_670 Depth=1
	s_or_b64 exec, exec, s[20:21]
	s_and_b64 s[18:19], exec, s[22:23]
	s_or_b64 s[12:13], s[18:19], s[12:13]
	s_andn2_b64 s[14:15], s[14:15], exec
	s_and_b64 s[18:19], s[16:17], exec
	s_or_b64 s[14:15], s[14:15], s[18:19]
	s_andn2_b64 exec, exec, s[12:13]
	s_cbranch_execz .LBB0_674
.LBB0_670:                              ; =>This Inner Loop Header: Depth=1
	s_add_i32 s24, s24, 1
	s_cmpk_lg_i32 s24, 0x2710
	s_cselect_b64 s[18:19], -1, 0
	s_and_b64 vcc, exec, s[18:19]
	s_cbranch_vccz .LBB0_672
; %bb.671:                              ;   in Loop: Header=BB0_670 Depth=1
	s_mov_b64 s[22:23], -1
	s_or_b64 s[16:17], s[16:17], exec
	s_and_saveexec_b64 s[20:21], s[18:19]
	s_cbranch_execz .LBB0_669
	s_branch .LBB0_673
.LBB0_672:                              ;   in Loop: Header=BB0_670 Depth=1
	s_trap 2
	ds_read_b64 v[2:3], v0
	s_andn2_b64 s[18:19], s[18:19], exec
	s_mov_b32 s24, 0
	s_waitcnt lgkmcnt(0)
	flat_load_dword v2, v[2:3] glc
	s_waitcnt vmcnt(0) lgkmcnt(0)
	buffer_wbinvl1_vol
	v_cmp_eq_u32_e32 vcc, 0, v2
	s_and_b64 s[20:21], vcc, exec
	s_or_b64 s[18:19], s[18:19], s[20:21]
	s_mov_b64 s[22:23], -1
	s_or_b64 s[16:17], s[16:17], exec
	s_and_saveexec_b64 s[20:21], s[18:19]
	s_cbranch_execz .LBB0_669
.LBB0_673:                              ;   in Loop: Header=BB0_670 Depth=1
	s_sleep 1
	s_trap 2
	ds_read_b64 v[2:3], v0
	s_waitcnt lgkmcnt(0)
	s_andn2_b64 s[16:17], s[16:17], exec
	v_cmp_ge_u64_e32 vcc, v[2:3], v[0:1]
	s_orn2_b64 s[22:23], vcc, exec
	s_branch .LBB0_669
.LBB0_674:
	s_or_b64 exec, exec, s[12:13]
	s_and_saveexec_b64 s[12:13], s[14:15]
	s_xor_b64 s[12:13], exec, s[12:13]
	s_cbranch_execz .LBB0_676
; %bb.675:
	v_mov_b32_e32 v0, 1
	ds_write_b32 v0, v0
	s_trap 2
.LBB0_676:
	s_or_b64 exec, exec, s[10:11]
	;;#ASMSTART
	s_wakeup
	;;#ASMEND
.LBB0_677:
	s_or_b64 exec, exec, s[8:9]
.LBB0_678:
	s_andn2_saveexec_b64 s[6:7], s[6:7]
	s_cbranch_execz .LBB0_680
; %bb.679:
	s_waitcnt lgkmcnt(0)
	buffer_wbinvl1_vol
	s_barrier
.LBB0_680:
	s_or_b64 exec, exec, s[4:5]
	buffer_load_dword v62, off, s[0:3], s32 ; 4-byte Folded Reload
	buffer_load_dword v61, off, s[0:3], s32 offset:4 ; 4-byte Folded Reload
	buffer_load_dword v60, off, s[0:3], s32 offset:8 ; 4-byte Folded Reload
	buffer_load_dword v59, off, s[0:3], s32 offset:12 ; 4-byte Folded Reload
	buffer_load_dword v58, off, s[0:3], s32 offset:16 ; 4-byte Folded Reload
	buffer_load_dword v57, off, s[0:3], s32 offset:20 ; 4-byte Folded Reload
	buffer_load_dword v56, off, s[0:3], s32 offset:24 ; 4-byte Folded Reload
	buffer_load_dword v47, off, s[0:3], s32 offset:28 ; 4-byte Folded Reload
	buffer_load_dword v46, off, s[0:3], s32 offset:32 ; 4-byte Folded Reload
	buffer_load_dword v45, off, s[0:3], s32 offset:36 ; 4-byte Folded Reload
	buffer_load_dword v44, off, s[0:3], s32 offset:40 ; 4-byte Folded Reload
	buffer_load_dword v43, off, s[0:3], s32 offset:44 ; 4-byte Folded Reload
	buffer_load_dword v42, off, s[0:3], s32 offset:48 ; 4-byte Folded Reload
	buffer_load_dword v41, off, s[0:3], s32 offset:52 ; 4-byte Folded Reload
	buffer_load_dword v40, off, s[0:3], s32 offset:56 ; 4-byte Folded Reload
	v_readlane_b32 s30, v63, 7
	v_readlane_b32 s31, v63, 8
	;; [unrolled: 1-line block ×9, first 2 shown]
	s_or_saveexec_b64 s[4:5], -1
	buffer_load_dword v63, off, s[0:3], s32 offset:236 ; 4-byte Folded Reload
	s_mov_b64 exec, s[4:5]
	s_waitcnt vmcnt(0) lgkmcnt(0)
	s_setpc_b64 s[30:31]
.Lfunc_end0:
	.size	_ZN12_GLOBAL__N_17runRingI14__hip_fp8_e4m38FuncProdIS1_E7ProtoLLLi0ELi1ELi0EEEviiP15ncclDevWorkColl, .Lfunc_end0-_ZN12_GLOBAL__N_17runRingI14__hip_fp8_e4m38FuncProdIS1_E7ProtoLLLi0ELi1ELi0EEEviiP15ncclDevWorkColl
                                        ; -- End function
	.set .L_ZN12_GLOBAL__N_17runRingI14__hip_fp8_e4m38FuncProdIS1_E7ProtoLLLi0ELi1ELi0EEEviiP15ncclDevWorkColl.num_vgpr, 64
	.set .L_ZN12_GLOBAL__N_17runRingI14__hip_fp8_e4m38FuncProdIS1_E7ProtoLLLi0ELi1ELi0EEEviiP15ncclDevWorkColl.num_agpr, 0
	.set .L_ZN12_GLOBAL__N_17runRingI14__hip_fp8_e4m38FuncProdIS1_E7ProtoLLLi0ELi1ELi0EEEviiP15ncclDevWorkColl.numbered_sgpr, 96
	.set .L_ZN12_GLOBAL__N_17runRingI14__hip_fp8_e4m38FuncProdIS1_E7ProtoLLLi0ELi1ELi0EEEviiP15ncclDevWorkColl.num_named_barrier, 0
	.set .L_ZN12_GLOBAL__N_17runRingI14__hip_fp8_e4m38FuncProdIS1_E7ProtoLLLi0ELi1ELi0EEEviiP15ncclDevWorkColl.private_seg_size, 244
	.set .L_ZN12_GLOBAL__N_17runRingI14__hip_fp8_e4m38FuncProdIS1_E7ProtoLLLi0ELi1ELi0EEEviiP15ncclDevWorkColl.uses_vcc, 1
	.set .L_ZN12_GLOBAL__N_17runRingI14__hip_fp8_e4m38FuncProdIS1_E7ProtoLLLi0ELi1ELi0EEEviiP15ncclDevWorkColl.uses_flat_scratch, 0
	.set .L_ZN12_GLOBAL__N_17runRingI14__hip_fp8_e4m38FuncProdIS1_E7ProtoLLLi0ELi1ELi0EEEviiP15ncclDevWorkColl.has_dyn_sized_stack, 0
	.set .L_ZN12_GLOBAL__N_17runRingI14__hip_fp8_e4m38FuncProdIS1_E7ProtoLLLi0ELi1ELi0EEEviiP15ncclDevWorkColl.has_recursion, 0
	.set .L_ZN12_GLOBAL__N_17runRingI14__hip_fp8_e4m38FuncProdIS1_E7ProtoLLLi0ELi1ELi0EEEviiP15ncclDevWorkColl.has_indirect_call, 0
	.section	.AMDGPU.csdata,"",@progbits
; Function info:
; codeLenInByte = 20948
; TotalNumSgprs: 100
; NumVgprs: 64
; ScratchSize: 244
; MemoryBound: 0
	.text
	.p2align	2                               ; -- Begin function _Z51ncclDevFunc_ReduceScatter_RING_LL_Prod_f8e4m3_0_0_1v
	.type	_Z51ncclDevFunc_ReduceScatter_RING_LL_Prod_f8e4m3_0_0_1v,@function
_Z51ncclDevFunc_ReduceScatter_RING_LL_Prod_f8e4m3_0_0_1v: ; @_Z51ncclDevFunc_ReduceScatter_RING_LL_Prod_f8e4m3_0_0_1v
; %bb.0:
	s_waitcnt vmcnt(0) expcnt(0) lgkmcnt(0)
	s_mov_b32 s4, s33
	s_mov_b32 s33, s32
	s_or_saveexec_b64 s[6:7], -1
	buffer_store_dword v43, off, s[0:3], s33 offset:16 ; 4-byte Folded Spill
	s_mov_b64 exec, s[6:7]
	v_writelane_b32 v43, s4, 15
	s_addk_i32 s32, 0x800
	buffer_store_dword v40, off, s[0:3], s33 offset:12 ; 4-byte Folded Spill
	buffer_store_dword v41, off, s[0:3], s33 offset:8 ; 4-byte Folded Spill
	;; [unrolled: 1-line block ×3, first 2 shown]
	buffer_store_dword v63, off, s[0:3], s33 ; 4-byte Folded Spill
	v_writelane_b32 v43, s34, 0
	v_writelane_b32 v43, s35, 1
	;; [unrolled: 1-line block ×15, first 2 shown]
	s_trap 2
	ds_read_b32 v0, v0
	v_mov_b32_e32 v40, v31
	s_mov_b32 s49, s12
	s_mov_b64 s[50:51], s[8:9]
	s_waitcnt lgkmcnt(0)
	v_cmp_gt_i32_e32 vcc, 1, v0
	s_cbranch_vccnz .LBB1_8
; %bb.1:
	s_mov_b32 s54, 0
	v_and_b32_e32 v41, 0x3ff, v40
	v_mov_b32_e32 v42, 6
	s_branch .LBB1_3
.LBB1_2:                                ;   in Loop: Header=BB1_3 Depth=1
	s_or_b64 exec, exec, s[52:53]
	s_trap 2
	ds_read_b32 v0, v0
	s_add_i32 s54, s54, 1
	s_waitcnt lgkmcnt(0)
	v_cmp_lt_i32_e32 vcc, s54, v0
	s_cbranch_vccz .LBB1_8
.LBB1_3:                                ; =>This Inner Loop Header: Depth=1
	s_trap 2
	ds_read_b32 v0, v0
	s_cmp_eq_u32 s54, 0
	s_cbranch_scc1 .LBB1_6
; %bb.4:                                ;   in Loop: Header=BB1_3 Depth=1
	s_trap 2
	s_waitcnt lgkmcnt(0)
	ds_read_b32 v1, v0
	s_waitcnt lgkmcnt(0)
	v_xor_b32_e32 v1, v1, v0
	v_and_b32_e32 v1, 0xff0000, v1
	v_cmp_eq_u32_e32 vcc, 0, v1
	s_cbranch_vccnz .LBB1_6
; %bb.5:                                ;   in Loop: Header=BB1_3 Depth=1
	s_waitcnt vmcnt(0)
	s_barrier
	ds_read_b32 v0, v0
.LBB1_6:                                ;   in Loop: Header=BB1_3 Depth=1
	s_waitcnt lgkmcnt(0)
	v_lshlrev_b32_sdwa v1, v42, v0 dst_sel:DWORD dst_unused:UNUSED_PAD src0_sel:DWORD src1_sel:BYTE_2
	v_cmp_lt_u32_e32 vcc, v41, v1
	s_and_saveexec_b64 s[52:53], vcc
	s_cbranch_execz .LBB1_2
; %bb.7:                                ;   in Loop: Header=BB1_3 Depth=1
	s_mov_b64 s[4:5], src_shared_base
	s_getpc_b64 s[6:7]
	s_add_u32 s6, s6, _ZN12_GLOBAL__N_17runRingI14__hip_fp8_e4m38FuncProdIS1_E7ProtoLLLi0ELi1ELi0EEEviiP15ncclDevWorkColl@rel32@lo+4
	s_addc_u32 s7, s7, _ZN12_GLOBAL__N_17runRingI14__hip_fp8_e4m38FuncProdIS1_E7ProtoLLLi0ELi1ELi0EEEviiP15ncclDevWorkColl@rel32@hi+12
	s_mov_b64 s[8:9], s[50:51]
	s_mov_b32 s12, s49
	v_mov_b32_e32 v31, v40
	v_mov_b32_e32 v0, v41
	;; [unrolled: 1-line block ×3, first 2 shown]
	s_swappc_b64 s[30:31], s[6:7]
	s_branch .LBB1_2
.LBB1_8:
	buffer_load_dword v63, off, s[0:3], s33 ; 4-byte Folded Reload
	buffer_load_dword v42, off, s[0:3], s33 offset:4 ; 4-byte Folded Reload
	buffer_load_dword v41, off, s[0:3], s33 offset:8 ; 4-byte Folded Reload
	;; [unrolled: 1-line block ×3, first 2 shown]
	v_readlane_b32 s30, v43, 13
	v_readlane_b32 s31, v43, 14
	;; [unrolled: 1-line block ×15, first 2 shown]
	s_mov_b32 s32, s33
	v_readlane_b32 s4, v43, 15
	s_or_saveexec_b64 s[6:7], -1
	buffer_load_dword v43, off, s[0:3], s33 offset:16 ; 4-byte Folded Reload
	s_mov_b64 exec, s[6:7]
	s_mov_b32 s33, s4
	s_waitcnt vmcnt(0)
	s_setpc_b64 s[30:31]
.Lfunc_end1:
	.size	_Z51ncclDevFunc_ReduceScatter_RING_LL_Prod_f8e4m3_0_0_1v, .Lfunc_end1-_Z51ncclDevFunc_ReduceScatter_RING_LL_Prod_f8e4m3_0_0_1v
                                        ; -- End function
	.set .L_Z51ncclDevFunc_ReduceScatter_RING_LL_Prod_f8e4m3_0_0_1v.num_vgpr, max(64, .L_ZN12_GLOBAL__N_17runRingI14__hip_fp8_e4m38FuncProdIS1_E7ProtoLLLi0ELi1ELi0EEEviiP15ncclDevWorkColl.num_vgpr)
	.set .L_Z51ncclDevFunc_ReduceScatter_RING_LL_Prod_f8e4m3_0_0_1v.num_agpr, max(0, .L_ZN12_GLOBAL__N_17runRingI14__hip_fp8_e4m38FuncProdIS1_E7ProtoLLLi0ELi1ELi0EEEviiP15ncclDevWorkColl.num_agpr)
	.set .L_Z51ncclDevFunc_ReduceScatter_RING_LL_Prod_f8e4m3_0_0_1v.numbered_sgpr, max(55, .L_ZN12_GLOBAL__N_17runRingI14__hip_fp8_e4m38FuncProdIS1_E7ProtoLLLi0ELi1ELi0EEEviiP15ncclDevWorkColl.numbered_sgpr)
	.set .L_Z51ncclDevFunc_ReduceScatter_RING_LL_Prod_f8e4m3_0_0_1v.num_named_barrier, max(0, .L_ZN12_GLOBAL__N_17runRingI14__hip_fp8_e4m38FuncProdIS1_E7ProtoLLLi0ELi1ELi0EEEviiP15ncclDevWorkColl.num_named_barrier)
	.set .L_Z51ncclDevFunc_ReduceScatter_RING_LL_Prod_f8e4m3_0_0_1v.private_seg_size, 32+max(.L_ZN12_GLOBAL__N_17runRingI14__hip_fp8_e4m38FuncProdIS1_E7ProtoLLLi0ELi1ELi0EEEviiP15ncclDevWorkColl.private_seg_size)
	.set .L_Z51ncclDevFunc_ReduceScatter_RING_LL_Prod_f8e4m3_0_0_1v.uses_vcc, or(1, .L_ZN12_GLOBAL__N_17runRingI14__hip_fp8_e4m38FuncProdIS1_E7ProtoLLLi0ELi1ELi0EEEviiP15ncclDevWorkColl.uses_vcc)
	.set .L_Z51ncclDevFunc_ReduceScatter_RING_LL_Prod_f8e4m3_0_0_1v.uses_flat_scratch, or(0, .L_ZN12_GLOBAL__N_17runRingI14__hip_fp8_e4m38FuncProdIS1_E7ProtoLLLi0ELi1ELi0EEEviiP15ncclDevWorkColl.uses_flat_scratch)
	.set .L_Z51ncclDevFunc_ReduceScatter_RING_LL_Prod_f8e4m3_0_0_1v.has_dyn_sized_stack, or(0, .L_ZN12_GLOBAL__N_17runRingI14__hip_fp8_e4m38FuncProdIS1_E7ProtoLLLi0ELi1ELi0EEEviiP15ncclDevWorkColl.has_dyn_sized_stack)
	.set .L_Z51ncclDevFunc_ReduceScatter_RING_LL_Prod_f8e4m3_0_0_1v.has_recursion, or(1, .L_ZN12_GLOBAL__N_17runRingI14__hip_fp8_e4m38FuncProdIS1_E7ProtoLLLi0ELi1ELi0EEEviiP15ncclDevWorkColl.has_recursion)
	.set .L_Z51ncclDevFunc_ReduceScatter_RING_LL_Prod_f8e4m3_0_0_1v.has_indirect_call, or(0, .L_ZN12_GLOBAL__N_17runRingI14__hip_fp8_e4m38FuncProdIS1_E7ProtoLLLi0ELi1ELi0EEEviiP15ncclDevWorkColl.has_indirect_call)
	.section	.AMDGPU.csdata,"",@progbits
; Function info:
; codeLenInByte = 624
; TotalNumSgprs: 100
; NumVgprs: 64
; ScratchSize: 276
; MemoryBound: 0
	.text
	.p2align	2                               ; -- Begin function _ZN12_GLOBAL__N_17runRingI14__hip_fp8_e4m38FuncProdIS1_E7ProtoLLLi0ELi2ELi0EEEviiP15ncclDevWorkColl
	.type	_ZN12_GLOBAL__N_17runRingI14__hip_fp8_e4m38FuncProdIS1_E7ProtoLLLi0ELi2ELi0EEEviiP15ncclDevWorkColl,@function
_ZN12_GLOBAL__N_17runRingI14__hip_fp8_e4m38FuncProdIS1_E7ProtoLLLi0ELi2ELi0EEEviiP15ncclDevWorkColl: ; @_ZN12_GLOBAL__N_17runRingI14__hip_fp8_e4m38FuncProdIS1_E7ProtoLLLi0ELi2ELi0EEEviiP15ncclDevWorkColl
; %bb.0:
	s_waitcnt vmcnt(0) expcnt(0) lgkmcnt(0)
	s_or_saveexec_b64 s[4:5], -1
	buffer_store_dword v63, off, s[0:3], s32 offset:236 ; 4-byte Folded Spill
	s_mov_b64 exec, s[4:5]
	buffer_store_dword v40, off, s[0:3], s32 offset:56 ; 4-byte Folded Spill
	buffer_store_dword v41, off, s[0:3], s32 offset:52 ; 4-byte Folded Spill
	;; [unrolled: 1-line block ×14, first 2 shown]
	buffer_store_dword v62, off, s[0:3], s32 ; 4-byte Folded Spill
	v_writelane_b32 v63, s34, 0
	v_writelane_b32 v63, s35, 1
	;; [unrolled: 1-line block ×9, first 2 shown]
	s_trap 2
	flat_load_dword v7, v[2:3]
	flat_load_dwordx4 v[10:13], v[2:3] offset:72
	flat_load_dwordx2 v[18:19], v[2:3] offset:88
	v_mov_b32_e32 v4, v0
	ds_read_b32 v5, v0
	s_waitcnt lgkmcnt(0)
	v_readfirstlane_b32 s20, v5
	s_waitcnt vmcnt(0)
	v_not_b32_sdwa v6, v7 dst_sel:DWORD dst_unused:UNUSED_PAD src0_sel:BYTE_0
	v_add_u32_sdwa v0, v7, v6 dst_sel:DWORD dst_unused:UNUSED_PAD src0_sel:BYTE_1 src1_sel:DWORD
	v_mul_lo_u32 v9, v13, v0
	v_mad_u64_u32 v[20:21], s[4:5], v12, v0, 0
	buffer_store_dword v10, off, s[0:3], s32 offset:116 ; 4-byte Folded Spill
	s_nop 0
	buffer_store_dword v11, off, s[0:3], s32 offset:120 ; 4-byte Folded Spill
	buffer_store_dword v12, off, s[0:3], s32 offset:124 ; 4-byte Folded Spill
	;; [unrolled: 1-line block ×3, first 2 shown]
	v_ashrrev_i32_e32 v8, 31, v0
	v_cmp_ne_u32_sdwa s[4:5], v5, v7 src0_sel:DWORD src1_sel:BYTE_0
	v_mul_lo_u32 v0, v12, v8
	ds_read_b64 v[24:25], v0
	v_add3_u32 v0, v21, v0, v9
                                        ; implicit-def: $vgpr21_vgpr22
                                        ; implicit-def: $vgpr8_vgpr9
                                        ; kill: killed $vgpr8_vgpr9
	s_and_saveexec_b64 s[6:7], s[4:5]
	s_xor_b64 s[4:5], exec, s[6:7]
	s_cbranch_execz .LBB2_6
; %bb.1:
	v_cmp_ne_u32_sdwa s[6:7], v5, v7 src0_sel:DWORD src1_sel:BYTE_1
                                        ; implicit-def: $vgpr21_vgpr22
                                        ; implicit-def: $vgpr7_vgpr8
                                        ; kill: killed $vgpr7_vgpr8
	s_and_saveexec_b64 s[10:11], s[6:7]
	s_xor_b64 s[6:7], exec, s[10:11]
	s_cbranch_execz .LBB2_3
; %bb.2:
	flat_load_dwordx2 v[7:8], v[2:3] offset:96
	buffer_load_dword v10, off, s[0:3], s32 offset:116 ; 4-byte Folded Reload
	buffer_load_dword v11, off, s[0:3], s32 offset:120 ; 4-byte Folded Reload
	;; [unrolled: 1-line block ×4, first 2 shown]
	v_add_u32_e32 v5, v5, v6
	v_ashrrev_i32_e32 v6, 31, v5
	s_waitcnt vmcnt(0)
	v_mul_lo_u32 v6, v12, v6
	v_mul_lo_u32 v9, v13, v5
	v_mad_u64_u32 v[10:11], s[10:11], v12, v5, v[10:11]
	s_waitcnt lgkmcnt(0)
	v_lshrrev_b64 v[21:22], 17, v[7:8]
	v_add3_u32 v11, v9, v11, v6
	buffer_store_dword v10, off, s[0:3], s32 offset:132 ; 4-byte Folded Spill
	s_nop 0
	buffer_store_dword v11, off, s[0:3], s32 offset:136 ; 4-byte Folded Spill
.LBB2_3:
	s_andn2_saveexec_b64 s[6:7], s[6:7]
	s_cbranch_execz .LBB2_5
; %bb.4:
	flat_load_dword v5, v[2:3] offset:100
	buffer_load_dword v6, off, s[0:3], s32 offset:116 ; 4-byte Folded Reload
	buffer_load_dword v7, off, s[0:3], s32 offset:120 ; 4-byte Folded Reload
	;; [unrolled: 1-line block ×4, first 2 shown]
	s_waitcnt vmcnt(0)
	v_add_co_u32_e32 v8, vcc, v20, v6
	v_addc_co_u32_e32 v9, vcc, v0, v7, vcc
	buffer_store_dword v8, off, s[0:3], s32 offset:132 ; 4-byte Folded Spill
	s_nop 0
	buffer_store_dword v9, off, s[0:3], s32 offset:136 ; 4-byte Folded Spill
	v_mov_b32_e32 v8, v18
	s_waitcnt lgkmcnt(0)
	v_lshrrev_b32_e32 v21, 6, v5
	v_mov_b32_e32 v9, v19
	buffer_store_dword v6, off, s[0:3], s32 offset:116 ; 4-byte Folded Spill
	s_nop 0
	buffer_store_dword v7, off, s[0:3], s32 offset:120 ; 4-byte Folded Spill
	buffer_store_dword v8, off, s[0:3], s32 offset:124 ; 4-byte Folded Spill
	;; [unrolled: 1-line block ×3, first 2 shown]
.LBB2_5:
	s_or_b64 exec, exec, s[6:7]
.LBB2_6:
	s_andn2_saveexec_b64 s[4:5], s[4:5]
	s_cbranch_execz .LBB2_8
; %bb.7:
	flat_load_dwordx2 v[5:6], v[2:3] offset:96
	s_waitcnt vmcnt(0) lgkmcnt(0)
	v_lshlrev_b64 v[21:22], 4, v[5:6]
	v_mov_b32_e32 v5, 0
	v_mov_b32_e32 v6, 0
	buffer_store_dword v5, off, s[0:3], s32 offset:132 ; 4-byte Folded Spill
	s_nop 0
	buffer_store_dword v6, off, s[0:3], s32 offset:136 ; 4-byte Folded Spill
	buffer_load_dword v5, off, s[0:3], s32 offset:116 ; 4-byte Folded Reload
	s_nop 0
	buffer_load_dword v6, off, s[0:3], s32 offset:120 ; 4-byte Folded Reload
	buffer_load_dword v7, off, s[0:3], s32 offset:124 ; 4-byte Folded Reload
	;; [unrolled: 1-line block ×3, first 2 shown]
	s_waitcnt vmcnt(0)
	v_mov_b32_e32 v8, v6
	v_mov_b32_e32 v7, v5
	buffer_store_dword v5, off, s[0:3], s32 offset:116 ; 4-byte Folded Spill
	s_nop 0
	buffer_store_dword v6, off, s[0:3], s32 offset:120 ; 4-byte Folded Spill
	buffer_store_dword v7, off, s[0:3], s32 offset:124 ; 4-byte Folded Spill
	;; [unrolled: 1-line block ×3, first 2 shown]
.LBB2_8:
	s_or_b64 exec, exec, s[4:5]
	flat_load_dwordx4 v[5:8], v[2:3] offset:16
	v_mov_b32_e32 v26, 0
	s_mov_b32 s6, 0
	v_mov_b32_e32 v27, 0
	s_waitcnt vmcnt(0) lgkmcnt(0)
	buffer_store_dword v5, off, s[0:3], s32 offset:168 ; 4-byte Folded Spill
	s_nop 0
	buffer_store_dword v6, off, s[0:3], s32 offset:172 ; 4-byte Folded Spill
	buffer_store_dword v7, off, s[0:3], s32 offset:176 ; 4-byte Folded Spill
	;; [unrolled: 1-line block ×3, first 2 shown]
	flat_load_ushort v6, v[2:3] offset:8
	s_nop 0
	flat_load_dword v5, v[2:3] offset:4
	s_load_dword s4, s[8:9], 0x0
	s_waitcnt lgkmcnt(0)
	s_cmp_lt_u32 s12, s4
	s_cselect_b32 s4, 12, 18
	s_add_u32 s4, s8, s4
	s_addc_u32 s5, s9, 0
	s_waitcnt vmcnt(0)
	v_lshrrev_b64 v[2:3], 31, v[5:6]
	v_mov_b32_e32 v3, 0
	global_load_ushort v12, v3, s[4:5]
	v_ashrrev_i32_e32 v5, 31, v4
	v_and_b32_e32 v7, 3, v2
	v_lshrrev_b32_e32 v2, 26, v5
	v_add_u32_e32 v2, v4, v2
	v_and_b32_e32 v2, 0xffffffc0, v2
	v_sub_u32_e32 v6, v4, v2
	s_trap 2
	ds_read_b32 v2, v0
	v_cmp_eq_u32_e64 s[4:5], 0, v6
	s_waitcnt lgkmcnt(0)
	v_cmp_gt_i32_e32 vcc, 0, v2
	v_readfirstlane_b32 s8, v2
	s_cbranch_vccnz .LBB2_10
; %bb.9:
	s_trap 2
	ds_read_b64 v[8:9], v0
	v_lshlrev_b64 v[2:3], 3, v[2:3]
	s_movk_i32 s6, 0xa8
	s_waitcnt lgkmcnt(0)
	v_add_co_u32_e32 v2, vcc, v8, v2
	v_addc_co_u32_e32 v3, vcc, v9, v3, vcc
	flat_load_dwordx2 v[2:3], v[2:3]
	v_and_b32_e32 v8, 0xffff, v7
	s_waitcnt vmcnt(0) lgkmcnt(0)
	v_mad_u64_u32 v[2:3], s[6:7], v8, s6, v[2:3]
	s_mov_b32 s6, 1
	flat_load_dwordx2 v[8:9], v[2:3] offset:504
	v_add_co_u32_e32 v28, vcc, 0x1f8, v2
	v_addc_co_u32_e32 v29, vcc, 0, v3, vcc
	s_waitcnt vmcnt(0) lgkmcnt(0)
	buffer_store_dword v8, off, s[0:3], s32 offset:76 ; 4-byte Folded Spill
	s_nop 0
	buffer_store_dword v9, off, s[0:3], s32 offset:80 ; 4-byte Folded Spill
	flat_load_dwordx2 v[36:37], v[2:3] offset:608
	v_cndmask_b32_e64 v3, 0, v29, s[4:5]
	v_cndmask_b32_e64 v2, 0, v28, s[4:5]
	s_branch .LBB2_11
.LBB2_10:
	v_mov_b32_e32 v28, 0
	v_mov_b32_e32 v2, 0
	;; [unrolled: 1-line block ×4, first 2 shown]
                                        ; implicit-def: $vgpr36_vgpr37
                                        ; implicit-def: $vgpr8_vgpr9
                                        ; kill: killed $vgpr8_vgpr9
.LBB2_11:
	s_trap 2
	ds_read_b32 v14, v0
	s_waitcnt lgkmcnt(0)
	v_cmp_gt_i32_e32 vcc, 0, v14
	s_cbranch_vccnz .LBB2_13
; %bb.12:
	s_trap 2
	ds_read_b64 v[8:9], v0
	v_mov_b32_e32 v15, 0
	v_lshlrev_b64 v[10:11], 3, v[14:15]
	v_and_b32_e32 v7, 0xffff, v7
	s_movk_i32 s4, 0xa8
	s_waitcnt lgkmcnt(0)
	v_add_co_u32_e32 v8, vcc, v8, v10
	v_addc_co_u32_e32 v9, vcc, v9, v11, vcc
	flat_load_dwordx2 v[8:9], v[8:9]
	v_cmp_eq_u32_e32 vcc, 0, v6
	s_waitcnt vmcnt(0) lgkmcnt(0)
	v_mad_u64_u32 v[26:27], s[4:5], v7, s4, v[8:9]
	flat_load_dwordx2 v[38:39], v[26:27]
	flat_load_dwordx2 v[22:23], v[26:27] offset:104
	v_cndmask_b32_e32 v17, 0, v27, vcc
	v_cndmask_b32_e32 v16, 0, v26, vcc
	s_branch .LBB2_14
.LBB2_13:
	v_mov_b32_e32 v16, 0
	v_mov_b32_e32 v17, 0
                                        ; implicit-def: $vgpr22_vgpr23
                                        ; implicit-def: $vgpr38_vgpr39
.LBB2_14:
	v_subrev_u32_e32 v7, 64, v1
	v_cmp_ge_i32_e32 vcc, v4, v7
	v_cmp_gt_i32_e64 s[4:5], s6, v6
	v_mov_b32_e32 v14, 0
	v_mov_b32_e32 v6, 0
	;; [unrolled: 1-line block ×4, first 2 shown]
	s_and_b64 s[22:23], vcc, s[4:5]
	buffer_store_dword v6, off, s[0:3], s32 offset:68 ; 4-byte Folded Spill
	s_nop 0
	buffer_store_dword v7, off, s[0:3], s32 offset:72 ; 4-byte Folded Spill
                                        ; implicit-def: $vgpr48_vgpr49
	s_and_saveexec_b64 s[4:5], s[22:23]
	s_cbranch_execz .LBB2_16
; %bb.15:
	flat_load_dwordx2 v[6:7], v[2:3] offset:56
	s_waitcnt vmcnt(0) lgkmcnt(0)
	buffer_store_dword v6, off, s[0:3], s32 offset:68 ; 4-byte Folded Spill
	s_nop 0
	buffer_store_dword v7, off, s[0:3], s32 offset:72 ; 4-byte Folded Spill
	flat_load_dwordx2 v[48:49], v[2:3] offset:104
.LBB2_16:
	s_or_b64 exec, exec, s[4:5]
	v_mov_b32_e32 v52, 0
	v_mov_b32_e32 v53, 0
	v_cmp_gt_i32_e64 s[4:5], s6, v4
                                        ; implicit-def: $vgpr54_vgpr55
	s_and_saveexec_b64 s[6:7], s[4:5]
	s_cbranch_execz .LBB2_18
; %bb.17:
	flat_load_dwordx2 v[52:53], v[16:17] offset:56
	s_waitcnt vmcnt(0) lgkmcnt(0)
	flat_load_dwordx2 v[54:55], v[52:53] glc
	s_waitcnt vmcnt(0)
	flat_load_dwordx4 v[14:17], v[16:17] offset:96
.LBB2_18:
	s_or_b64 exec, exec, s[6:7]
	buffer_load_dword v8, off, s[0:3], s32 offset:116 ; 4-byte Folded Reload
	buffer_load_dword v9, off, s[0:3], s32 offset:120 ; 4-byte Folded Reload
	;; [unrolled: 1-line block ×4, first 2 shown]
	v_mov_b32_e32 v2, 0
	v_mov_b32_e32 v3, 0
	s_waitcnt vmcnt(0)
	v_cmp_ne_u64_e32 vcc, 0, v[10:11]
	s_and_saveexec_b64 s[24:25], vcc
	s_cbranch_execz .LBB2_658
; %bb.19:
	v_add_co_u32_e32 v2, vcc, v18, v8
	s_ashr_i32 s6, s8, 31
	v_addc_co_u32_e32 v3, vcc, v19, v9, vcc
	s_lshr_b32 s6, s6, 29
	v_add_co_u32_e32 v2, vcc, v2, v20
	s_ashr_i32 s21, s20, 31
	s_add_i32 s8, s8, s6
	v_addc_co_u32_e32 v0, vcc, v3, v0, vcc
	s_lshl_b64 s[6:7], s[20:21], 2
	buffer_store_dword v28, off, s[0:3], s32 offset:228 ; 4-byte Folded Spill
	s_nop 0
	buffer_store_dword v29, off, s[0:3], s32 offset:232 ; 4-byte Folded Spill
	buffer_store_dword v26, off, s[0:3], s32 offset:220 ; 4-byte Folded Spill
	s_nop 0
	buffer_store_dword v27, off, s[0:3], s32 offset:224 ; 4-byte Folded Spill
	buffer_store_dword v2, off, s[0:3], s32 offset:60 ; 4-byte Folded Spill
	;; [unrolled: 1-line block ×3, first 2 shown]
	v_mov_b32_e32 v0, s7
	v_add_co_u32_e32 v2, vcc, s6, v24
	v_addc_co_u32_e32 v0, vcc, v25, v0, vcc
	v_add_co_u32_e32 v2, vcc, -4, v2
	v_addc_co_u32_e32 v3, vcc, -1, v0, vcc
	v_and_b32_e32 v0, 63, v31
	v_cmp_eq_u32_e64 s[12:13], 0, v0
	v_lshrrev_b32_e32 v0, 6, v1
	buffer_store_dword v2, off, s[0:3], s32 offset:148 ; 4-byte Folded Spill
	s_nop 0
	buffer_store_dword v3, off, s[0:3], s32 offset:152 ; 4-byte Folded Spill
	buffer_store_dword v12, off, s[0:3], s32 offset:216 ; 4-byte Folded Spill
	;; [unrolled: 1-line block ×4, first 2 shown]
	buffer_load_dword v6, off, s[0:3], s32 offset:168 ; 4-byte Folded Reload
	buffer_load_dword v7, off, s[0:3], s32 offset:172 ; 4-byte Folded Reload
	;; [unrolled: 1-line block ×4, first 2 shown]
	v_cmp_ne_u32_sdwa s[40:41], v1, v12 src0_sel:DWORD src1_sel:WORD_0
	v_lshlrev_b32_e32 v12, 3, v4
	v_ashrrev_i32_e32 v18, 31, v12
	v_mov_b32_e32 v43, 0
	s_ashr_i32 s10, s8, 3
	s_ashr_i32 s34, s8, 7
	s_and_b32 s21, s10, -16
	v_cmp_ne_u64_e64 s[6:7], 0, v[52:53]
	s_waitcnt lgkmcnt(0)
	v_cmp_ne_u64_e64 s[8:9], 0, v[14:15]
	s_cmp_gt_i32 s20, 2
	v_mov_b32_e32 v50, 0
	v_and_b32_e32 v28, 0x1fffff0, v21
	s_mov_b32 s27, 0
	v_mov_b32_e32 v29, v43
	s_mov_b64 s[28:29], 0
	v_cmp_ne_u32_e64 s[10:11], 64, v1
	v_lshlrev_b32_e32 v13, 3, v1
	s_cselect_b64 s[42:43], -1, 0
	v_lshlrev_b32_e32 v34, 6, v1
	v_mov_b32_e32 v51, 0
	s_mov_b64 s[44:45], 0x7ffffff8
	s_movk_i32 s35, 0xff
	s_movk_i32 s36, 0x80
	s_movk_i32 s37, 0x7f
	s_mov_b64 s[46:47], 0x7f800000
	s_mov_b64 s[56:57], 0x43e00001
	s_movk_i32 s38, 0x7a
	s_mov_b64 s[58:59], 0xffffff
	s_mov_b32 s39, 0xffffff
	v_bfrev_b32_e32 v27, 60
	v_mov_b32_e32 v40, 0
	s_waitcnt vmcnt(1)
	v_add_co_u32_e32 v0, vcc, v8, v12
	buffer_store_dword v0, off, s[0:3], s32 offset:188 ; 4-byte Folded Spill
	s_waitcnt vmcnt(1)
	v_addc_co_u32_e32 v0, vcc, v9, v18, vcc
	buffer_store_dword v0, off, s[0:3], s32 offset:192 ; 4-byte Folded Spill
	buffer_load_dword v2, off, s[0:3], s32 offset:68 ; 4-byte Folded Reload
	buffer_load_dword v3, off, s[0:3], s32 offset:72 ; 4-byte Folded Reload
	v_add_co_u32_e32 v0, vcc, v6, v12
	buffer_store_dword v0, off, s[0:3], s32 offset:196 ; 4-byte Folded Spill
	v_addc_co_u32_e32 v0, vcc, v7, v18, vcc
	buffer_store_dword v0, off, s[0:3], s32 offset:200 ; 4-byte Folded Spill
	s_waitcnt vmcnt(2)
	v_cmp_ne_u64_e64 s[14:15], 0, v[2:3]
	buffer_load_dword v2, off, s[0:3], s32 offset:132 ; 4-byte Folded Reload
	buffer_load_dword v3, off, s[0:3], s32 offset:136 ; 4-byte Folded Reload
	s_waitcnt vmcnt(1)
	v_add_co_u32_e32 v0, vcc, v2, v8
	s_waitcnt vmcnt(0)
	v_addc_co_u32_e32 v2, vcc, v3, v9, vcc
	v_add_co_u32_e32 v61, vcc, v0, v12
	v_addc_co_u32_e32 v62, vcc, v2, v18, vcc
	v_lshlrev_b64 v[2:3], 4, v[4:5]
	v_mov_b32_e32 v5, 0x78
	v_add_co_u32_e32 v0, vcc, v38, v2
	v_mov_b32_e32 v2, v43
	buffer_store_dword v0, off, s[0:3], s32 offset:204 ; 4-byte Folded Spill
	v_addc_co_u32_e32 v0, vcc, v39, v3, vcc
	v_lshlrev_b64 v[44:45], 4, v[1:2]
	v_mov_b32_e32 v2, 0
	v_mov_b32_e32 v3, 0
	;; [unrolled: 1-line block ×4, first 2 shown]
	buffer_store_dword v18, off, s[0:3], s32 offset:184 ; 4-byte Folded Spill
	buffer_store_dword v0, off, s[0:3], s32 offset:208 ; 4-byte Folded Spill
	;; [unrolled: 1-line block ×4, first 2 shown]
	s_nop 0
	buffer_store_dword v29, off, s[0:3], s32 offset:144 ; 4-byte Folded Spill
	s_branch .LBB2_21
.LBB2_20:                               ;   in Loop: Header=BB2_21 Depth=1
	s_or_b64 exec, exec, s[16:17]
	v_add_co_u32_e32 v36, vcc, 1, v36
	v_addc_co_u32_e32 v37, vcc, 0, v37, vcc
	v_add_co_u32_e32 v50, vcc, v50, v28
	v_addc_co_u32_e32 v51, vcc, 0, v51, vcc
	v_add_co_u32_e32 v61, vcc, v61, v28
	v_addc_co_u32_e32 v62, vcc, 0, v62, vcc
	v_cmp_ge_u64_e32 vcc, v[50:51], v[10:11]
	s_or_b64 s[28:29], vcc, s[28:29]
	s_andn2_b64 exec, exec, s[28:29]
	s_cbranch_execz .LBB2_657
.LBB2_21:                               ; =>This Loop Header: Depth=1
                                        ;     Child Loop BB2_26 Depth 2
                                        ;     Child Loop BB2_45 Depth 2
	;; [unrolled: 1-line block ×5, first 2 shown]
                                        ;       Child Loop BB2_75 Depth 3
                                        ;       Child Loop BB2_94 Depth 3
	;; [unrolled: 1-line block ×3, first 2 shown]
                                        ;         Child Loop BB2_116 Depth 4
                                        ;       Child Loop BB2_356 Depth 3
                                        ;       Child Loop BB2_365 Depth 3
                                        ;     Child Loop BB2_377 Depth 2
                                        ;       Child Loop BB2_385 Depth 3
                                        ;     Child Loop BB2_644 Depth 2
	buffer_load_dword v6, off, s[0:3], s32 offset:148 ; 4-byte Folded Reload
	buffer_load_dword v7, off, s[0:3], s32 offset:152 ; 4-byte Folded Reload
	s_waitcnt vmcnt(0) lgkmcnt(0)
	flat_load_dword v0, v[6:7]
	v_sub_co_u32_e32 v6, vcc, v10, v50
	v_subb_co_u32_e32 v7, vcc, v11, v51, vcc
	v_cmp_lt_u64_e32 vcc, v[28:29], v[6:7]
	v_cndmask_b32_e32 v7, v6, v28, vcc
	v_lshl_add_u32 v6, v7, 1, 14
	v_and_b32_e32 v6, 0x7fffff0, v6
	buffer_store_dword v6, off, s[0:3], s32 offset:92 ; 4-byte Folded Spill
	s_and_saveexec_b64 s[18:19], s[6:7]
	s_cbranch_execz .LBB2_37
; %bb.22:                               ;   in Loop: Header=BB2_21 Depth=1
	v_add_co_u32_e32 v18, vcc, 1, v16
	v_addc_co_u32_e32 v19, vcc, 0, v17, vcc
	v_add_co_u32_e32 v10, vcc, 8, v54
	v_addc_co_u32_e32 v11, vcc, 0, v55, vcc
	v_cmp_lt_u64_e32 vcc, v[10:11], v[18:19]
	s_and_saveexec_b64 s[60:61], vcc
	s_cbranch_execz .LBB2_34
; %bb.23:                               ;   in Loop: Header=BB2_21 Depth=1
	s_mov_b32 s26, 0
	v_cmp_eq_u32_e32 vcc, 0, v40
	s_mov_b64 s[62:63], 0
                                        ; implicit-def: $sgpr72_sgpr73
                                        ; implicit-def: $sgpr74_sgpr75
                                        ; implicit-def: $sgpr76_sgpr77
	s_branch .LBB2_26
.LBB2_24:                               ;   in Loop: Header=BB2_26 Depth=2
	s_or_b64 exec, exec, s[94:95]
	s_andn2_b64 s[16:17], s[76:77], exec
	s_and_b64 s[76:77], s[90:91], exec
	s_or_b64 s[76:77], s[16:17], s[76:77]
	s_andn2_b64 s[16:17], s[74:75], exec
	s_and_b64 s[74:75], s[88:89], exec
	v_mov_b32_e32 v11, 0
	s_or_b64 s[74:75], s[16:17], s[74:75]
.LBB2_25:                               ;   in Loop: Header=BB2_26 Depth=2
	s_or_b64 exec, exec, s[78:79]
	s_and_b64 s[16:17], exec, s[74:75]
	s_or_b64 s[62:63], s[16:17], s[62:63]
	s_andn2_b64 s[16:17], s[72:73], exec
	s_and_b64 s[72:73], s[76:77], exec
	s_or_b64 s[72:73], s[16:17], s[72:73]
	s_andn2_b64 exec, exec, s[62:63]
	s_cbranch_execz .LBB2_31
.LBB2_26:                               ;   Parent Loop BB2_21 Depth=1
                                        ; =>  This Inner Loop Header: Depth=2
	s_sleep 1
	s_waitcnt vmcnt(0) lgkmcnt(0)
	flat_load_dwordx2 v[54:55], v[52:53] glc
	s_or_b64 s[76:77], s[76:77], exec
	s_or_b64 s[74:75], s[74:75], exec
	v_mov_b32_e32 v11, v40
                                        ; implicit-def: $vgpr10
	s_and_saveexec_b64 s[78:79], vcc
	s_cbranch_execz .LBB2_25
; %bb.27:                               ;   in Loop: Header=BB2_26 Depth=2
	s_add_i32 s26, s26, 1
	s_cmpk_lg_i32 s26, 0x2710
	s_cselect_b64 s[92:93], -1, 0
	s_cmpk_eq_i32 s26, 0x2710
	s_mov_b64 s[88:89], -1
	s_mov_b64 s[90:91], -1
                                        ; implicit-def: $vgpr10
	s_cbranch_scc1 .LBB2_29
; %bb.28:                               ;   in Loop: Header=BB2_26 Depth=2
	s_and_saveexec_b64 s[94:95], s[92:93]
	s_cbranch_execz .LBB2_24
	s_branch .LBB2_30
.LBB2_29:                               ;   in Loop: Header=BB2_26 Depth=2
	s_trap 2
	s_waitcnt vmcnt(0) lgkmcnt(0)
	ds_read_b64 v[10:11], v0
	s_andn2_b64 s[92:93], s[92:93], exec
	s_mov_b32 s26, 0
	s_mov_b64 s[90:91], 0
	s_waitcnt lgkmcnt(0)
	flat_load_dword v10, v[10:11] glc
	s_waitcnt vmcnt(0) lgkmcnt(0)
	buffer_wbinvl1_vol
	v_cmp_eq_u32_e64 s[16:17], 0, v10
	s_and_b64 s[16:17], s[16:17], exec
	s_or_b64 s[92:93], s[92:93], s[16:17]
	s_and_saveexec_b64 s[94:95], s[92:93]
	s_cbranch_execz .LBB2_24
.LBB2_30:                               ;   in Loop: Header=BB2_26 Depth=2
	s_waitcnt vmcnt(0) lgkmcnt(0)
	v_add_co_u32_e64 v11, s[16:17], 8, v54
	v_addc_co_u32_e64 v12, s[16:17], 0, v55, s[16:17]
	v_cmp_ge_u64_e64 s[16:17], v[11:12], v[18:19]
	s_or_b64 s[90:91], s[90:91], exec
	s_orn2_b64 s[88:89], s[16:17], exec
	s_branch .LBB2_24
.LBB2_31:                               ;   in Loop: Header=BB2_21 Depth=1
	s_or_b64 exec, exec, s[62:63]
	s_xor_b64 s[16:17], s[72:73], -1
	s_and_saveexec_b64 s[62:63], s[16:17]
	s_xor_b64 s[16:17], exec, s[62:63]
	s_cbranch_execz .LBB2_33
; %bb.32:                               ;   in Loop: Header=BB2_21 Depth=1
	v_mov_b32_e32 v11, 1
	s_waitcnt vmcnt(0) lgkmcnt(0)
	ds_write_b32 v0, v10
	s_trap 2
.LBB2_33:                               ;   in Loop: Header=BB2_21 Depth=1
	s_or_b64 exec, exec, s[16:17]
	v_mov_b32_e32 v40, v11
.LBB2_34:                               ;   in Loop: Header=BB2_21 Depth=1
	s_or_b64 exec, exec, s[60:61]
	s_and_saveexec_b64 s[16:17], s[8:9]
	s_cbranch_execz .LBB2_36
; %bb.35:                               ;   in Loop: Header=BB2_21 Depth=1
	buffer_load_dword v12, off, s[0:3], s32 offset:92 ; 4-byte Folded Reload
	v_and_b32_e32 v42, 0x7ffffff8, v16
	v_and_b32_e32 v6, 7, v16
	v_mad_u64_u32 v[10:11], s[60:61], v6, 24, v[14:15]
	v_cmp_eq_u64_e32 vcc, s[44:45], v[42:43]
	v_mov_b32_e32 v6, s21
	s_waitcnt vmcnt(0)
	v_cndmask_b32_e32 v16, v12, v6, vcc
	v_ashrrev_i32_e32 v17, 31, v16
	flat_store_dwordx2 v[10:11], v[16:17] offset:8
	s_waitcnt vmcnt(0)
.LBB2_36:                               ;   in Loop: Header=BB2_21 Depth=1
	s_or_b64 exec, exec, s[16:17]
	v_mov_b32_e32 v16, v18
	v_mov_b32_e32 v17, v19
.LBB2_37:                               ;   in Loop: Header=BB2_21 Depth=1
	s_or_b64 exec, exec, s[18:19]
	s_and_saveexec_b64 s[16:17], s[10:11]
	s_cbranch_execz .LBB2_56
; %bb.38:                               ;   in Loop: Header=BB2_21 Depth=1
	s_and_saveexec_b64 s[18:19], s[40:41]
	s_xor_b64 s[18:19], exec, s[18:19]
	s_cbranch_execz .LBB2_53
; %bb.39:                               ;   in Loop: Header=BB2_21 Depth=1
	s_and_saveexec_b64 s[60:61], s[12:13]
	s_cbranch_execz .LBB2_52
; %bb.40:                               ;   in Loop: Header=BB2_21 Depth=1
	s_mov_b64 s[72:73], exec
	v_mbcnt_lo_u32_b32 v6, s72, 0
	v_mbcnt_hi_u32_b32 v6, s73, v6
	v_cmp_eq_u32_e32 vcc, 0, v6
	s_waitcnt vmcnt(0) lgkmcnt(0)
	buffer_wbinvl1_vol
	s_and_saveexec_b64 s[62:63], vcc
	s_cbranch_execz .LBB2_42
; %bb.41:                               ;   in Loop: Header=BB2_21 Depth=1
	s_bcnt1_i32_b64 s26, s[72:73]
	v_mov_b32_e32 v42, s26
	ds_add_u64 v0, v[42:43]
	s_trap 2
.LBB2_42:                               ;   in Loop: Header=BB2_21 Depth=1
	s_or_b64 exec, exec, s[62:63]
	s_trap 2
	ds_read_b64 v[10:11], v0
	s_waitcnt lgkmcnt(0)
	buffer_load_dword v6, off, s[0:3], s32 offset:96 ; 4-byte Folded Reload
	s_waitcnt vmcnt(0)
	v_add_co_u32_e32 v2, vcc, v2, v6
	v_addc_co_u32_e32 v3, vcc, 0, v3, vcc
	v_cmp_lt_u64_e32 vcc, v[10:11], v[2:3]
	s_and_saveexec_b64 s[62:63], vcc
	s_cbranch_execz .LBB2_51
; %bb.43:                               ;   in Loop: Header=BB2_21 Depth=1
	s_mov_b32 s26, 0
	s_mov_b64 s[72:73], 0
                                        ; implicit-def: $sgpr74_sgpr75
                                        ; implicit-def: $sgpr76_sgpr77
	s_branch .LBB2_45
.LBB2_44:                               ;   in Loop: Header=BB2_45 Depth=2
	s_or_b64 exec, exec, s[88:89]
	s_and_b64 s[78:79], exec, s[90:91]
	s_or_b64 s[72:73], s[78:79], s[72:73]
	s_andn2_b64 s[74:75], s[74:75], exec
	s_and_b64 s[78:79], s[76:77], exec
	s_or_b64 s[74:75], s[74:75], s[78:79]
	s_andn2_b64 exec, exec, s[72:73]
	s_cbranch_execz .LBB2_49
.LBB2_45:                               ;   Parent Loop BB2_21 Depth=1
                                        ; =>  This Inner Loop Header: Depth=2
	s_add_i32 s26, s26, 1
	s_cmpk_lg_i32 s26, 0x2710
	s_cselect_b64 s[78:79], -1, 0
	s_and_b64 vcc, exec, s[78:79]
	s_cbranch_vccz .LBB2_47
; %bb.46:                               ;   in Loop: Header=BB2_45 Depth=2
	s_mov_b64 s[90:91], -1
	s_or_b64 s[76:77], s[76:77], exec
	s_and_saveexec_b64 s[88:89], s[78:79]
	s_cbranch_execz .LBB2_44
	s_branch .LBB2_48
.LBB2_47:                               ;   in Loop: Header=BB2_45 Depth=2
	s_trap 2
	ds_read_b64 v[10:11], v0
	s_andn2_b64 s[78:79], s[78:79], exec
	s_mov_b32 s26, 0
	s_waitcnt lgkmcnt(0)
	flat_load_dword v6, v[10:11] glc
	s_waitcnt vmcnt(0) lgkmcnt(0)
	buffer_wbinvl1_vol
	v_cmp_eq_u32_e32 vcc, 0, v6
	s_and_b64 s[88:89], vcc, exec
	s_or_b64 s[78:79], s[78:79], s[88:89]
	s_mov_b64 s[90:91], -1
	s_or_b64 s[76:77], s[76:77], exec
	s_and_saveexec_b64 s[88:89], s[78:79]
	s_cbranch_execz .LBB2_44
.LBB2_48:                               ;   in Loop: Header=BB2_45 Depth=2
	s_sleep 1
	s_trap 2
	ds_read_b64 v[10:11], v0
	s_waitcnt lgkmcnt(0)
	s_andn2_b64 s[76:77], s[76:77], exec
	v_cmp_ge_u64_e32 vcc, v[10:11], v[2:3]
	s_orn2_b64 s[90:91], vcc, exec
	s_branch .LBB2_44
.LBB2_49:                               ;   in Loop: Header=BB2_21 Depth=1
	s_or_b64 exec, exec, s[72:73]
	s_and_saveexec_b64 s[72:73], s[74:75]
	s_xor_b64 s[72:73], exec, s[72:73]
	s_cbranch_execz .LBB2_51
; %bb.50:                               ;   in Loop: Header=BB2_21 Depth=1
	v_mov_b32_e32 v6, 1
	ds_write_b32 v0, v6
	s_trap 2
.LBB2_51:                               ;   in Loop: Header=BB2_21 Depth=1
	s_or_b64 exec, exec, s[62:63]
	;;#ASMSTART
	s_wakeup
	;;#ASMEND
.LBB2_52:                               ;   in Loop: Header=BB2_21 Depth=1
	s_or_b64 exec, exec, s[60:61]
.LBB2_53:                               ;   in Loop: Header=BB2_21 Depth=1
	s_andn2_saveexec_b64 s[18:19], s[18:19]
	s_cbranch_execz .LBB2_55
; %bb.54:                               ;   in Loop: Header=BB2_21 Depth=1
	s_waitcnt vmcnt(0) lgkmcnt(0)
	buffer_wbinvl1_vol
	s_barrier
.LBB2_55:                               ;   in Loop: Header=BB2_21 Depth=1
	s_or_b64 exec, exec, s[18:19]
.LBB2_56:                               ;   in Loop: Header=BB2_21 Depth=1
	s_or_b64 exec, exec, s[16:17]
	v_lshlrev_b32_e32 v6, 3, v4
	v_sub_u32_e32 v26, v7, v6
	v_cmp_lt_i32_e64 s[16:17], 0, v26
	v_and_b32_e32 v7, 7, v22
	v_add_u32_e32 v19, 1, v22
	v_mov_b32_e32 v32, v4
	s_and_saveexec_b64 s[18:19], s[16:17]
	s_cbranch_execz .LBB2_64
; %bb.57:                               ;   in Loop: Header=BB2_21 Depth=1
	buffer_load_dword v11, off, s[0:3], s32 offset:60 ; 4-byte Folded Reload
	buffer_load_dword v12, off, s[0:3], s32 offset:64 ; 4-byte Folded Reload
	s_waitcnt vmcnt(0) lgkmcnt(0)
	v_ashrrev_i32_e32 v6, 31, v0
	v_mul_lo_u32 v10, v7, s34
	v_mov_b32_e32 v32, v4
	v_mad_u64_u32 v[30:31], s[60:61], v11, v0, v[61:62]
	v_mul_lo_u32 v12, v12, v0
	v_mul_lo_u32 v6, v11, v6
	;; [unrolled: 1-line block ×3, first 2 shown]
	v_ashrrev_i32_e32 v11, 31, v10
	v_lshlrev_b64 v[10:11], 4, v[10:11]
	v_add3_u32 v31, v12, v31, v6
	buffer_load_dword v6, off, s[0:3], s32 offset:204 ; 4-byte Folded Reload
	v_add_lshl_u32 v0, v61, v0, 3
	s_mov_b64 s[60:61], 0
	s_waitcnt vmcnt(0)
	v_add_co_u32_e32 v56, vcc, v6, v10
	buffer_load_dword v6, off, s[0:3], s32 offset:208 ; 4-byte Folded Reload
	v_mov_b32_e32 v10, v26
	s_waitcnt vmcnt(0)
	v_addc_co_u32_e32 v57, vcc, v6, v11, vcc
	s_branch .LBB2_59
.LBB2_58:                               ;   in Loop: Header=BB2_59 Depth=2
	s_or_b64 exec, exec, s[62:63]
	v_add_co_u32_e32 v30, vcc, v30, v13
	v_sub_u32_e32 v10, v10, v13
	v_addc_co_u32_e32 v31, vcc, 0, v31, vcc
	s_waitcnt vmcnt(0)
	v_alignbit_b32 v18, v12, v6, v0
	v_alignbit_b32 v20, v11, v12, v0
	v_mov_b32_e32 v21, v19
	v_cmp_gt_i32_e32 vcc, 1, v10
	global_store_dwordx4 v[56:57], v[18:21], off
	s_or_b64 s[60:61], vcc, s[60:61]
	v_add_co_u32_e32 v56, vcc, v56, v44
	v_add_u32_e32 v32, v32, v1
	v_add_u32_e32 v0, v0, v34
	v_addc_co_u32_e32 v57, vcc, v57, v45, vcc
	s_andn2_b64 exec, exec, s[60:61]
	s_cbranch_execz .LBB2_63
.LBB2_59:                               ;   Parent Loop BB2_21 Depth=1
                                        ; =>  This Inner Loop Header: Depth=2
	v_and_b32_e32 v20, -4, v30
	v_mov_b32_e32 v21, v31
	global_load_dword v6, v[20:21], off glc slc
	v_min_u32_e32 v11, 8, v10
	v_and_b32_e32 v12, 3, v30
	v_add_u32_e32 v42, v12, v11
	v_cmp_lt_u32_e32 vcc, 4, v42
	v_mov_b32_e32 v11, 0
	v_mov_b32_e32 v12, 0
	s_and_saveexec_b64 s[62:63], vcc
	s_cbranch_execz .LBB2_61
; %bb.60:                               ;   in Loop: Header=BB2_59 Depth=2
	global_load_dword v12, v[20:21], off offset:4 glc slc
.LBB2_61:                               ;   in Loop: Header=BB2_59 Depth=2
	s_or_b64 exec, exec, s[62:63]
	v_cmp_lt_u64_e32 vcc, 8, v[42:43]
	s_and_saveexec_b64 s[62:63], vcc
	s_cbranch_execz .LBB2_58
; %bb.62:                               ;   in Loop: Header=BB2_59 Depth=2
	global_load_dword v11, v[20:21], off offset:8 glc slc
	s_branch .LBB2_58
.LBB2_63:                               ;   in Loop: Header=BB2_21 Depth=1
	s_or_b64 exec, exec, s[60:61]
.LBB2_64:                               ;   in Loop: Header=BB2_21 Depth=1
	s_or_b64 exec, exec, s[18:19]
	v_and_b32_e32 v42, 0x7ffffff8, v22
	v_cmp_eq_u64_e32 vcc, s[44:45], v[42:43]
	v_cmp_gt_i32_e64 s[18:19], s34, v32
	s_and_b64 s[18:19], vcc, s[18:19]
	s_and_saveexec_b64 s[60:61], s[18:19]
	s_cbranch_execz .LBB2_67
; %bb.65:                               ;   in Loop: Header=BB2_21 Depth=1
	v_mul_lo_u32 v6, v7, s34
	v_ashrrev_i32_e32 v33, 31, v32
	v_lshlrev_b64 v[10:11], 4, v[32:33]
	v_mov_b32_e32 v18, v43
	v_ashrrev_i32_e32 v7, 31, v6
	v_lshlrev_b64 v[6:7], 4, v[6:7]
	s_mov_b64 s[62:63], 0
	s_waitcnt vmcnt(0) lgkmcnt(0)
	v_add_co_u32_e32 v0, vcc, v10, v6
	v_addc_co_u32_e32 v6, vcc, v11, v7, vcc
	v_add_co_u32_e32 v30, vcc, v38, v0
	v_addc_co_u32_e32 v31, vcc, v39, v6, vcc
.LBB2_66:                               ;   Parent Loop BB2_21 Depth=1
                                        ; =>  This Inner Loop Header: Depth=2
	v_mov_b32_e32 v20, v18
	v_mov_b32_e32 v21, v19
	v_add_u32_e32 v32, v32, v1
	global_store_dwordx4 v[30:31], v[18:21], off
	v_add_co_u32_e32 v30, vcc, v30, v44
	v_cmp_le_i32_e64 s[18:19], s34, v32
	s_or_b64 s[62:63], s[18:19], s[62:63]
	v_addc_co_u32_e32 v31, vcc, v31, v45, vcc
	s_andn2_b64 exec, exec, s[62:63]
	s_cbranch_execnz .LBB2_66
.LBB2_67:                               ;   in Loop: Header=BB2_21 Depth=1
	s_or_b64 exec, exec, s[60:61]
	buffer_load_dword v6, off, s[0:3], s32 offset:132 ; 4-byte Folded Reload
	buffer_load_dword v7, off, s[0:3], s32 offset:136 ; 4-byte Folded Reload
	v_add_co_u32_e64 v56, s[18:19], 1, v22
	v_addc_co_u32_e64 v57, s[18:19], 0, v23, s[18:19]
	s_waitcnt vmcnt(0)
	v_add_co_u32_e32 v6, vcc, v50, v6
	v_addc_co_u32_e32 v7, vcc, v51, v7, vcc
	s_andn2_b64 vcc, exec, s[42:43]
	buffer_store_dword v50, off, s[0:3], s32 offset:100 ; 4-byte Folded Spill
	s_nop 0
	buffer_store_dword v51, off, s[0:3], s32 offset:104 ; 4-byte Folded Spill
	buffer_store_dword v6, off, s[0:3], s32 offset:108 ; 4-byte Folded Spill
	;; [unrolled: 1-line block ×3, first 2 shown]
	s_cbranch_vccnz .LBB2_374
; %bb.68:                               ;   in Loop: Header=BB2_21 Depth=1
	buffer_store_dword v61, off, s[0:3], s32 offset:160 ; 4-byte Folded Spill
	s_nop 0
	buffer_store_dword v62, off, s[0:3], s32 offset:164 ; 4-byte Folded Spill
	s_waitcnt lgkmcnt(0)
	buffer_load_dword v0, off, s[0:3], s32 offset:188 ; 4-byte Folded Reload
	v_add_u16_e32 v50, 1, v22
	s_mov_b32 s48, 2
	s_waitcnt vmcnt(0)
	v_add_co_u32_e32 v6, vcc, v0, v6
	buffer_load_dword v0, off, s[0:3], s32 offset:192 ; 4-byte Folded Reload
	s_waitcnt vmcnt(0)
	v_addc_co_u32_e32 v7, vcc, v0, v7, vcc
	buffer_store_dword v6, off, s[0:3], s32 offset:84 ; 4-byte Folded Spill
	s_nop 0
	buffer_store_dword v7, off, s[0:3], s32 offset:88 ; 4-byte Folded Spill
	s_branch .LBB2_70
.LBB2_69:                               ;   in Loop: Header=BB2_70 Depth=2
	s_or_b64 exec, exec, s[60:61]
	v_add_co_u32_e32 v36, vcc, 1, v36
	v_addc_co_u32_e32 v37, vcc, 0, v37, vcc
	s_add_i32 s48, s48, 1
	v_add_co_u32_e32 v56, vcc, 1, v56
	v_addc_co_u32_e32 v57, vcc, 0, v57, vcc
	s_cmp_eq_u32 s48, s20
	v_add_u16_e32 v50, 1, v50
	s_cbranch_scc1 .LBB2_373
.LBB2_70:                               ;   Parent Loop BB2_21 Depth=1
                                        ; =>  This Loop Header: Depth=2
                                        ;       Child Loop BB2_75 Depth 3
                                        ;       Child Loop BB2_94 Depth 3
	;; [unrolled: 1-line block ×3, first 2 shown]
                                        ;         Child Loop BB2_116 Depth 4
                                        ;       Child Loop BB2_356 Depth 3
                                        ;       Child Loop BB2_365 Depth 3
	s_sub_i32 s26, s20, s48
	s_lshl_b64 s[18:19], s[26:27], 2
	s_waitcnt vmcnt(0) lgkmcnt(0)
	v_mov_b32_e32 v0, s19
	v_add_co_u32_e32 v6, vcc, s18, v24
	v_addc_co_u32_e32 v7, vcc, v25, v0, vcc
	flat_load_dword v0, v[6:7]
	s_and_saveexec_b64 s[60:61], s[6:7]
	s_cbranch_execz .LBB2_86
; %bb.71:                               ;   in Loop: Header=BB2_70 Depth=2
	v_add_co_u32_e32 v18, vcc, 1, v16
	v_addc_co_u32_e32 v19, vcc, 0, v17, vcc
	v_add_co_u32_e32 v6, vcc, 8, v54
	v_addc_co_u32_e32 v7, vcc, 0, v55, vcc
	v_cmp_lt_u64_e32 vcc, v[6:7], v[18:19]
	s_and_saveexec_b64 s[62:63], vcc
	s_cbranch_execz .LBB2_83
; %bb.72:                               ;   in Loop: Header=BB2_70 Depth=2
	s_mov_b32 s26, 0
	v_cmp_eq_u32_e32 vcc, 0, v40
	s_mov_b64 s[72:73], 0
                                        ; implicit-def: $sgpr74_sgpr75
                                        ; implicit-def: $sgpr76_sgpr77
                                        ; implicit-def: $sgpr78_sgpr79
	s_branch .LBB2_75
.LBB2_73:                               ;   in Loop: Header=BB2_75 Depth=3
	s_or_b64 exec, exec, s[30:31]
	s_andn2_b64 s[18:19], s[78:79], exec
	s_and_b64 s[78:79], s[92:93], exec
	s_or_b64 s[78:79], s[18:19], s[78:79]
	s_andn2_b64 s[18:19], s[76:77], exec
	s_and_b64 s[76:77], s[90:91], exec
	v_mov_b32_e32 v10, 0
	s_or_b64 s[76:77], s[18:19], s[76:77]
.LBB2_74:                               ;   in Loop: Header=BB2_75 Depth=3
	s_or_b64 exec, exec, s[88:89]
	s_and_b64 s[18:19], exec, s[76:77]
	s_or_b64 s[72:73], s[18:19], s[72:73]
	s_andn2_b64 s[18:19], s[74:75], exec
	s_and_b64 s[74:75], s[78:79], exec
	s_or_b64 s[74:75], s[18:19], s[74:75]
	s_andn2_b64 exec, exec, s[72:73]
	s_cbranch_execz .LBB2_80
.LBB2_75:                               ;   Parent Loop BB2_21 Depth=1
                                        ;     Parent Loop BB2_70 Depth=2
                                        ; =>    This Inner Loop Header: Depth=3
	s_sleep 1
	s_waitcnt vmcnt(0) lgkmcnt(0)
	flat_load_dwordx2 v[54:55], v[52:53] glc
	s_or_b64 s[78:79], s[78:79], exec
	s_or_b64 s[76:77], s[76:77], exec
	v_mov_b32_e32 v10, v40
                                        ; implicit-def: $vgpr7
	s_and_saveexec_b64 s[88:89], vcc
	s_cbranch_execz .LBB2_74
; %bb.76:                               ;   in Loop: Header=BB2_75 Depth=3
	s_add_i32 s26, s26, 1
	s_cmpk_lg_i32 s26, 0x2710
	s_cselect_b64 s[94:95], -1, 0
	s_cmpk_eq_i32 s26, 0x2710
	s_mov_b64 s[90:91], -1
	s_mov_b64 s[92:93], -1
                                        ; implicit-def: $vgpr7
	s_cbranch_scc1 .LBB2_78
; %bb.77:                               ;   in Loop: Header=BB2_75 Depth=3
	s_and_saveexec_b64 s[30:31], s[94:95]
	s_cbranch_execz .LBB2_73
	s_branch .LBB2_79
.LBB2_78:                               ;   in Loop: Header=BB2_75 Depth=3
	s_trap 2
	s_waitcnt vmcnt(0) lgkmcnt(0)
	ds_read_b64 v[6:7], v0
	s_andn2_b64 s[94:95], s[94:95], exec
	s_mov_b32 s26, 0
	s_mov_b64 s[92:93], 0
	s_waitcnt lgkmcnt(0)
	flat_load_dword v7, v[6:7] glc
	s_waitcnt vmcnt(0) lgkmcnt(0)
	buffer_wbinvl1_vol
	v_cmp_eq_u32_e64 s[18:19], 0, v7
	s_and_b64 s[18:19], s[18:19], exec
	s_or_b64 s[94:95], s[94:95], s[18:19]
	s_and_saveexec_b64 s[30:31], s[94:95]
	s_cbranch_execz .LBB2_73
.LBB2_79:                               ;   in Loop: Header=BB2_75 Depth=3
	s_waitcnt vmcnt(0) lgkmcnt(0)
	v_add_co_u32_e64 v10, s[18:19], 8, v54
	v_addc_co_u32_e64 v11, s[18:19], 0, v55, s[18:19]
	v_cmp_ge_u64_e64 s[18:19], v[10:11], v[18:19]
	s_or_b64 s[92:93], s[92:93], exec
	s_orn2_b64 s[90:91], s[18:19], exec
	s_branch .LBB2_73
.LBB2_80:                               ;   in Loop: Header=BB2_70 Depth=2
	s_or_b64 exec, exec, s[72:73]
	s_xor_b64 s[18:19], s[74:75], -1
	s_and_saveexec_b64 s[72:73], s[18:19]
	s_xor_b64 s[18:19], exec, s[72:73]
	s_cbranch_execz .LBB2_82
; %bb.81:                               ;   in Loop: Header=BB2_70 Depth=2
	v_mov_b32_e32 v10, 1
	s_waitcnt vmcnt(0) lgkmcnt(0)
	ds_write_b32 v0, v7
	s_trap 2
.LBB2_82:                               ;   in Loop: Header=BB2_70 Depth=2
	s_or_b64 exec, exec, s[18:19]
	v_mov_b32_e32 v40, v10
.LBB2_83:                               ;   in Loop: Header=BB2_70 Depth=2
	s_or_b64 exec, exec, s[62:63]
	s_and_saveexec_b64 s[18:19], s[8:9]
	s_cbranch_execz .LBB2_85
; %bb.84:                               ;   in Loop: Header=BB2_70 Depth=2
	buffer_load_dword v11, off, s[0:3], s32 offset:92 ; 4-byte Folded Reload
	v_and_b32_e32 v42, 0x7ffffff8, v16
	v_and_b32_e32 v6, 7, v16
	v_mad_u64_u32 v[6:7], s[62:63], v6, 24, v[14:15]
	v_cmp_eq_u64_e32 vcc, s[44:45], v[42:43]
	v_mov_b32_e32 v10, s21
	s_waitcnt vmcnt(0)
	v_cndmask_b32_e32 v10, v11, v10, vcc
	v_ashrrev_i32_e32 v11, 31, v10
	flat_store_dwordx2 v[6:7], v[10:11] offset:8
	s_waitcnt vmcnt(0)
.LBB2_85:                               ;   in Loop: Header=BB2_70 Depth=2
	s_or_b64 exec, exec, s[18:19]
	v_mov_b32_e32 v16, v18
	v_mov_b32_e32 v17, v19
.LBB2_86:                               ;   in Loop: Header=BB2_70 Depth=2
	s_or_b64 exec, exec, s[60:61]
	s_and_saveexec_b64 s[18:19], s[10:11]
	s_cbranch_execz .LBB2_105
; %bb.87:                               ;   in Loop: Header=BB2_70 Depth=2
	s_and_saveexec_b64 s[60:61], s[40:41]
	s_xor_b64 s[60:61], exec, s[60:61]
	s_cbranch_execz .LBB2_102
; %bb.88:                               ;   in Loop: Header=BB2_70 Depth=2
	s_and_saveexec_b64 s[62:63], s[12:13]
	s_cbranch_execz .LBB2_101
; %bb.89:                               ;   in Loop: Header=BB2_70 Depth=2
	s_mov_b64 s[74:75], exec
	v_mbcnt_lo_u32_b32 v6, s74, 0
	v_mbcnt_hi_u32_b32 v6, s75, v6
	v_cmp_eq_u32_e32 vcc, 0, v6
	s_waitcnt vmcnt(0) lgkmcnt(0)
	buffer_wbinvl1_vol
	s_and_saveexec_b64 s[72:73], vcc
	s_cbranch_execz .LBB2_91
; %bb.90:                               ;   in Loop: Header=BB2_70 Depth=2
	s_bcnt1_i32_b64 s26, s[74:75]
	v_mov_b32_e32 v42, s26
	ds_add_u64 v0, v[42:43]
	s_trap 2
.LBB2_91:                               ;   in Loop: Header=BB2_70 Depth=2
	s_or_b64 exec, exec, s[72:73]
	s_trap 2
	ds_read_b64 v[6:7], v0
	s_waitcnt lgkmcnt(0)
	buffer_load_dword v10, off, s[0:3], s32 offset:96 ; 4-byte Folded Reload
	s_waitcnt vmcnt(0)
	v_add_co_u32_e32 v2, vcc, v2, v10
	v_addc_co_u32_e32 v3, vcc, 0, v3, vcc
	v_cmp_lt_u64_e32 vcc, v[6:7], v[2:3]
	s_and_saveexec_b64 s[72:73], vcc
	s_cbranch_execz .LBB2_100
; %bb.92:                               ;   in Loop: Header=BB2_70 Depth=2
	s_mov_b32 s26, 0
	s_mov_b64 s[74:75], 0
                                        ; implicit-def: $sgpr76_sgpr77
                                        ; implicit-def: $sgpr78_sgpr79
	s_branch .LBB2_94
.LBB2_93:                               ;   in Loop: Header=BB2_94 Depth=3
	s_or_b64 exec, exec, s[90:91]
	s_and_b64 s[88:89], exec, s[92:93]
	s_or_b64 s[74:75], s[88:89], s[74:75]
	s_andn2_b64 s[76:77], s[76:77], exec
	s_and_b64 s[88:89], s[78:79], exec
	s_or_b64 s[76:77], s[76:77], s[88:89]
	s_andn2_b64 exec, exec, s[74:75]
	s_cbranch_execz .LBB2_98
.LBB2_94:                               ;   Parent Loop BB2_21 Depth=1
                                        ;     Parent Loop BB2_70 Depth=2
                                        ; =>    This Inner Loop Header: Depth=3
	s_add_i32 s26, s26, 1
	s_cmpk_lg_i32 s26, 0x2710
	s_cselect_b64 s[88:89], -1, 0
	s_and_b64 vcc, exec, s[88:89]
	s_cbranch_vccz .LBB2_96
; %bb.95:                               ;   in Loop: Header=BB2_94 Depth=3
	s_mov_b64 s[92:93], -1
	s_or_b64 s[78:79], s[78:79], exec
	s_and_saveexec_b64 s[90:91], s[88:89]
	s_cbranch_execz .LBB2_93
	s_branch .LBB2_97
.LBB2_96:                               ;   in Loop: Header=BB2_94 Depth=3
	s_trap 2
	ds_read_b64 v[6:7], v0
	s_andn2_b64 s[88:89], s[88:89], exec
	s_mov_b32 s26, 0
	s_waitcnt lgkmcnt(0)
	flat_load_dword v6, v[6:7] glc
	s_waitcnt vmcnt(0) lgkmcnt(0)
	buffer_wbinvl1_vol
	v_cmp_eq_u32_e32 vcc, 0, v6
	s_and_b64 s[90:91], vcc, exec
	s_or_b64 s[88:89], s[88:89], s[90:91]
	s_mov_b64 s[92:93], -1
	s_or_b64 s[78:79], s[78:79], exec
	s_and_saveexec_b64 s[90:91], s[88:89]
	s_cbranch_execz .LBB2_93
.LBB2_97:                               ;   in Loop: Header=BB2_94 Depth=3
	s_sleep 1
	s_trap 2
	ds_read_b64 v[6:7], v0
	s_waitcnt lgkmcnt(0)
	s_andn2_b64 s[78:79], s[78:79], exec
	v_cmp_ge_u64_e32 vcc, v[6:7], v[2:3]
	s_orn2_b64 s[92:93], vcc, exec
	s_branch .LBB2_93
.LBB2_98:                               ;   in Loop: Header=BB2_70 Depth=2
	s_or_b64 exec, exec, s[74:75]
	s_and_saveexec_b64 s[74:75], s[76:77]
	s_xor_b64 s[74:75], exec, s[74:75]
	s_cbranch_execz .LBB2_100
; %bb.99:                               ;   in Loop: Header=BB2_70 Depth=2
	v_mov_b32_e32 v6, 1
	ds_write_b32 v0, v6
	s_trap 2
.LBB2_100:                              ;   in Loop: Header=BB2_70 Depth=2
	s_or_b64 exec, exec, s[72:73]
	;;#ASMSTART
	s_wakeup
	;;#ASMEND
.LBB2_101:                              ;   in Loop: Header=BB2_70 Depth=2
	s_or_b64 exec, exec, s[62:63]
.LBB2_102:                              ;   in Loop: Header=BB2_70 Depth=2
	s_andn2_saveexec_b64 s[60:61], s[60:61]
	s_cbranch_execz .LBB2_104
; %bb.103:                              ;   in Loop: Header=BB2_70 Depth=2
	s_waitcnt vmcnt(0) lgkmcnt(0)
	buffer_wbinvl1_vol
	s_barrier
.LBB2_104:                              ;   in Loop: Header=BB2_70 Depth=2
	s_or_b64 exec, exec, s[60:61]
.LBB2_105:                              ;   in Loop: Header=BB2_70 Depth=2
	s_or_b64 exec, exec, s[18:19]
	v_add_u32_e32 v19, 1, v56
	v_mov_b32_e32 v60, v4
	s_and_saveexec_b64 s[60:61], s[16:17]
	s_cbranch_execz .LBB2_348
; %bb.106:                              ;   in Loop: Header=BB2_70 Depth=2
	buffer_load_dword v7, off, s[0:3], s32 offset:60 ; 4-byte Folded Reload
	buffer_load_dword v10, off, s[0:3], s32 offset:84 ; 4-byte Folded Reload
	;; [unrolled: 1-line block ×3, first 2 shown]
	s_waitcnt vmcnt(0) lgkmcnt(0)
	v_ashrrev_i32_e32 v6, 31, v0
	s_mov_b64 s[62:63], 0
	v_mov_b32_e32 v41, v26
	v_mov_b32_e32 v60, v4
	v_mad_u64_u32 v[32:33], s[18:19], v7, v0, v[10:11]
	buffer_load_dword v10, off, s[0:3], s32 offset:64 ; 4-byte Folded Reload
	buffer_load_dword v11, off, s[0:3], s32 offset:76 ; 4-byte Folded Reload
	;; [unrolled: 1-line block ×3, first 2 shown]
	v_mul_lo_u32 v7, v7, v6
	v_and_b32_e32 v6, 7, v36
	v_mul_lo_u32 v6, v6, s34
	s_waitcnt vmcnt(2)
	v_mul_lo_u32 v0, v10, v0
	v_add3_u32 v33, v0, v33, v7
	v_and_b32_e32 v0, 7, v56
	v_mul_lo_u32 v10, v0, s34
	v_ashrrev_i32_e32 v7, 31, v6
	v_lshlrev_b64 v[6:7], 4, v[6:7]
	s_waitcnt vmcnt(1)
	v_add_co_u32_e32 v51, vcc, v11, v6
	v_ashrrev_i32_e32 v11, 31, v10
	v_lshlrev_b64 v[10:11], 4, v[10:11]
	s_waitcnt vmcnt(0)
	v_addc_co_u32_e32 v7, vcc, v12, v7, vcc
	v_add_co_u32_e32 v10, vcc, v38, v10
	v_add_u32_e32 v12, 1, v36
	v_addc_co_u32_e32 v11, vcc, v39, v11, vcc
	s_branch .LBB2_108
.LBB2_107:                              ;   in Loop: Header=BB2_108 Depth=3
	s_or_b64 exec, exec, s[18:19]
	v_add_co_u32_e32 v32, vcc, v32, v13
	v_addc_co_u32_e32 v33, vcc, 0, v33, vcc
	v_lshlrev_b32_e32 v0, 8, v34
	v_lshlrev_b32_e32 v6, 16, v30
	v_or3_b32 v0, v0, v18, v6
	v_lshlrev_b32_e32 v18, 8, v35
	v_lshlrev_b32_e32 v21, 16, v28
	v_add_co_u32_e32 v22, vcc, v10, v61
	v_or3_b32 v21, v18, v23, v21
	v_addc_co_u32_e32 v23, vcc, v11, v62, vcc
	v_sub_u32_e32 v41, v41, v13
	v_lshlrev_b32_e32 v6, 24, v31
	v_lshlrev_b32_e32 v20, 24, v20
	v_cmp_gt_i32_e32 vcc, 1, v41
	v_or3_b32 v18, v0, v6, 0
	v_or3_b32 v20, v21, v20, 0
	v_mov_b32_e32 v21, v19
	s_or_b64 s[62:63], vcc, s[62:63]
	v_add_u32_e32 v60, v60, v1
	global_store_dwordx4 v[22:23], v[18:21], off
	s_andn2_b64 exec, exec, s[62:63]
	s_cbranch_execz .LBB2_360
.LBB2_108:                              ;   Parent Loop BB2_21 Depth=1
                                        ;     Parent Loop BB2_70 Depth=2
                                        ; =>    This Loop Header: Depth=3
                                        ;         Child Loop BB2_116 Depth 4
	v_and_b32_e32 v20, -4, v32
	v_mov_b32_e32 v21, v33
	global_load_dword v0, v[20:21], off glc slc
	v_min_u32_e32 v6, 8, v41
	v_and_b32_e32 v18, 3, v32
	v_add_u32_e32 v42, v18, v6
	v_cmp_lt_u32_e32 vcc, 4, v42
	v_mov_b32_e32 v35, 0
	v_mov_b32_e32 v46, 0
	s_and_saveexec_b64 s[18:19], vcc
	s_cbranch_execz .LBB2_110
; %bb.109:                              ;   in Loop: Header=BB2_108 Depth=3
	global_load_dword v46, v[20:21], off offset:4 glc slc
.LBB2_110:                              ;   in Loop: Header=BB2_108 Depth=3
	s_or_b64 exec, exec, s[18:19]
	v_cmp_lt_u64_e32 vcc, 8, v[42:43]
	s_and_saveexec_b64 s[18:19], vcc
	s_cbranch_execz .LBB2_112
; %bb.111:                              ;   in Loop: Header=BB2_108 Depth=3
	global_load_dword v35, v[20:21], off offset:8 glc slc
.LBB2_112:                              ;   in Loop: Header=BB2_108 Depth=3
	s_or_b64 exec, exec, s[18:19]
	v_ashrrev_i32_e32 v61, 31, v60
	v_lshlrev_b64 v[61:62], 4, v[60:61]
	v_add_co_u32_e32 v30, vcc, v51, v61
	v_addc_co_u32_e32 v31, vcc, v7, v62, vcc
	global_load_dwordx4 v[20:23], v[30:31], off glc slc
	v_cmp_eq_u32_e32 vcc, 0, v40
	s_and_saveexec_b64 s[72:73], vcc
	s_cbranch_execz .LBB2_124
; %bb.113:                              ;   in Loop: Header=BB2_108 Depth=3
	s_waitcnt vmcnt(0)
	v_cmp_ne_u32_e32 vcc, v12, v21
	v_cmp_ne_u32_e64 s[18:19], v12, v23
	s_or_b64 s[18:19], vcc, s[18:19]
	v_mov_b32_e32 v40, 0
	s_and_saveexec_b64 s[74:75], s[18:19]
	s_cbranch_execz .LBB2_123
; %bb.114:                              ;   in Loop: Header=BB2_108 Depth=3
	s_mov_b32 s26, 1
	s_mov_b64 s[78:79], 0
                                        ; implicit-def: $sgpr76_sgpr77
                                        ; implicit-def: $sgpr88_sgpr89
	s_branch .LBB2_116
.LBB2_115:                              ;   in Loop: Header=BB2_116 Depth=4
	s_or_b64 exec, exec, s[92:93]
	s_and_b64 s[18:19], exec, s[18:19]
	s_or_b64 s[78:79], s[18:19], s[78:79]
	s_andn2_b64 s[18:19], s[76:77], exec
	s_and_b64 s[76:77], s[88:89], exec
	s_or_b64 s[76:77], s[18:19], s[76:77]
	s_andn2_b64 exec, exec, s[78:79]
	s_cbranch_execz .LBB2_120
.LBB2_116:                              ;   Parent Loop BB2_21 Depth=1
                                        ;     Parent Loop BB2_70 Depth=2
                                        ;       Parent Loop BB2_108 Depth=3
                                        ; =>      This Inner Loop Header: Depth=4
	global_load_dwordx4 v[20:23], v[30:31], off glc slc
	s_add_i32 s26, s26, 1
	s_mov_b64 s[18:19], -1
	s_cmpk_lg_i32 s26, 0x2710
	s_mov_b64 s[90:91], -1
                                        ; implicit-def: $vgpr18
	s_cbranch_scc0 .LBB2_118
; %bb.117:                              ;   in Loop: Header=BB2_116 Depth=4
	s_or_b64 s[88:89], s[88:89], exec
	s_and_saveexec_b64 s[92:93], s[90:91]
	s_cbranch_execz .LBB2_115
	s_branch .LBB2_119
.LBB2_118:                              ;   in Loop: Header=BB2_116 Depth=4
	s_trap 2
	ds_read_b64 v[28:29], v0
	s_mov_b32 s26, 0
	s_waitcnt vmcnt(0) lgkmcnt(0)
	flat_load_dword v18, v[28:29] glc
	s_waitcnt vmcnt(0) lgkmcnt(0)
	buffer_wbinvl1_vol
	v_cmp_eq_u32_e32 vcc, 0, v18
	s_orn2_b64 s[90:91], vcc, exec
	s_or_b64 s[88:89], s[88:89], exec
	s_and_saveexec_b64 s[92:93], s[90:91]
	s_cbranch_execz .LBB2_115
.LBB2_119:                              ;   in Loop: Header=BB2_116 Depth=4
	s_waitcnt vmcnt(0)
	v_cmp_eq_u32_e32 vcc, v12, v21
	v_cmp_eq_u32_e64 s[18:19], v12, v23
	s_and_b64 s[18:19], vcc, s[18:19]
	s_andn2_b64 s[88:89], s[88:89], exec
	s_orn2_b64 s[18:19], s[18:19], exec
	s_branch .LBB2_115
.LBB2_120:                              ;   in Loop: Header=BB2_108 Depth=3
	s_or_b64 exec, exec, s[78:79]
	v_mov_b32_e32 v40, 0
	s_and_saveexec_b64 s[18:19], s[76:77]
	s_xor_b64 s[18:19], exec, s[18:19]
	s_cbranch_execz .LBB2_122
; %bb.121:                              ;   in Loop: Header=BB2_108 Depth=3
	v_mov_b32_e32 v40, 1
	ds_write_b32 v0, v18
	s_trap 2
.LBB2_122:                              ;   in Loop: Header=BB2_108 Depth=3
	s_or_b64 exec, exec, s[18:19]
.LBB2_123:                              ;   in Loop: Header=BB2_108 Depth=3
	s_or_b64 exec, exec, s[74:75]
.LBB2_124:                              ;   in Loop: Header=BB2_108 Depth=3
	s_or_b64 exec, exec, s[72:73]
	s_waitcnt vmcnt(0)
	v_cmp_ne_u16_sdwa s[72:73], v20, v43 src0_sel:BYTE_0 src1_sel:DWORD
	v_mov_b32_e32 v18, 0
	v_mov_b32_e32 v28, 0
	s_and_saveexec_b64 s[18:19], s[72:73]
	s_cbranch_execz .LBB2_130
; %bb.125:                              ;   in Loop: Header=BB2_108 Depth=3
	v_cmp_ne_u16_sdwa s[74:75], v20, s36 src0_sel:BYTE_0 src1_sel:DWORD
	v_bfrev_b32_e32 v28, 1
	s_and_saveexec_b64 s[72:73], s[74:75]
	s_cbranch_execz .LBB2_129
; %bb.126:                              ;   in Loop: Header=BB2_108 Depth=3
	v_and_b32_e32 v6, 0x7f, v20
	v_cmp_ne_u32_e32 vcc, s37, v6
	v_mov_b32_e32 v28, 0x7f800001
	s_and_saveexec_b64 s[74:75], vcc
	s_cbranch_execz .LBB2_128
; %bb.127:                              ;   in Loop: Header=BB2_108 Depth=3
	v_and_b32_e32 v28, 7, v20
	v_lshrrev_b32_e32 v29, 3, v6
	v_cmp_gt_u32_e32 vcc, 8, v6
	v_ffbh_u32_e32 v6, v28
	v_min_u32_e32 v6, 32, v6
	v_subrev_u32_e32 v28, 28, v6
	v_sub_u32_e32 v6, 29, v6
	v_cndmask_b32_e32 v28, 0, v28, vcc
	v_cndmask_b32_e32 v6, v29, v6, vcc
	v_lshlrev_b64 v[28:29], v28, v[20:21]
	v_lshl_add_u32 v6, v6, 23, v27
	v_lshlrev_b32_e32 v21, 20, v28
	v_lshlrev_b32_e32 v28, 24, v20
	v_and_b32_e32 v21, 0x700000, v21
	v_and_b32_e32 v28, 0x80000000, v28
	v_or3_b32 v28, v28, v6, v21
.LBB2_128:                              ;   in Loop: Header=BB2_108 Depth=3
	s_or_b64 exec, exec, s[74:75]
.LBB2_129:                              ;   in Loop: Header=BB2_108 Depth=3
	s_or_b64 exec, exec, s[72:73]
.LBB2_130:                              ;   in Loop: Header=BB2_108 Depth=3
	s_or_b64 exec, exec, s[18:19]
	v_lshlrev_b32_e32 v47, 3, v32
	v_alignbit_b32 v42, v46, v0, v47
	v_cmp_ne_u16_sdwa s[72:73], v42, v43 src0_sel:BYTE_0 src1_sel:DWORD
	s_and_saveexec_b64 s[18:19], s[72:73]
	s_cbranch_execz .LBB2_136
; %bb.131:                              ;   in Loop: Header=BB2_108 Depth=3
	v_cmp_ne_u16_sdwa s[74:75], v42, s36 src0_sel:BYTE_0 src1_sel:DWORD
	v_bfrev_b32_e32 v18, 1
	s_and_saveexec_b64 s[72:73], s[74:75]
	s_cbranch_execz .LBB2_135
; %bb.132:                              ;   in Loop: Header=BB2_108 Depth=3
	v_and_b32_e32 v0, 0x7f, v42
	v_cmp_ne_u32_e32 vcc, s37, v0
	v_mov_b32_e32 v18, 0x7f800001
	s_and_saveexec_b64 s[74:75], vcc
	s_cbranch_execz .LBB2_134
; %bb.133:                              ;   in Loop: Header=BB2_108 Depth=3
	v_and_b32_e32 v6, 7, v42
	v_lshrrev_b32_e32 v18, 3, v0
	v_cmp_gt_u32_e32 vcc, 8, v0
	v_ffbh_u32_e32 v0, v6
	v_min_u32_e32 v0, 32, v0
	v_subrev_u32_e32 v6, 28, v0
	v_cndmask_b32_e32 v6, 0, v6, vcc
	v_lshlrev_b64 v[29:30], v6, v[42:43]
	v_sub_u32_e32 v0, 29, v0
	v_cndmask_b32_e32 v0, v18, v0, vcc
	v_lshlrev_b32_e32 v6, 20, v29
	v_lshlrev_b32_e32 v18, 24, v42
	v_and_b32_e32 v6, 0x700000, v6
	v_and_b32_e32 v18, 0x80000000, v18
	v_lshl_add_u32 v0, v0, 23, v27
	v_or3_b32 v18, v18, v0, v6
.LBB2_134:                              ;   in Loop: Header=BB2_108 Depth=3
	s_or_b64 exec, exec, s[74:75]
.LBB2_135:                              ;   in Loop: Header=BB2_108 Depth=3
	s_or_b64 exec, exec, s[72:73]
.LBB2_136:                              ;   in Loop: Header=BB2_108 Depth=3
	s_or_b64 exec, exec, s[18:19]
	v_mul_f32_e32 v21, v28, v18
	v_and_b32_e32 v28, 0x7f800000, v21
	v_mov_b32_e32 v29, v43
	v_cmp_ne_u64_e32 vcc, s[46:47], v[28:29]
                                        ; implicit-def: $vgpr18
	s_and_saveexec_b64 s[18:19], vcc
	s_xor_b64 s[72:73], exec, s[18:19]
	s_cbranch_execz .LBB2_150
; %bb.137:                              ;   in Loop: Header=BB2_108 Depth=3
	v_and_b32_e32 v28, 0x7fffffff, v21
	v_mov_b32_e32 v29, v43
	v_cmp_gt_u64_e32 vcc, s[56:57], v[28:29]
	v_and_b32_sdwa v0, v21, s36 dst_sel:DWORD dst_unused:UNUSED_PAD src0_sel:BYTE_3 src1_sel:DWORD
                                        ; implicit-def: $vgpr18
	s_and_saveexec_b64 s[18:19], vcc
	s_xor_b64 s[74:75], exec, s[18:19]
	s_cbranch_execz .LBB2_147
; %bb.138:                              ;   in Loop: Header=BB2_108 Depth=3
	v_mov_b32_e32 v18, 0
	v_cmp_ne_u32_e32 vcc, 0, v21
	s_and_saveexec_b64 s[76:77], vcc
	s_cbranch_execz .LBB2_146
; %bb.139:                              ;   in Loop: Header=BB2_108 Depth=3
	v_bfe_u32 v18, v21, 23, 8
	v_and_b32_e32 v6, 0x7fffff, v21
	v_cmp_gt_u32_e64 s[18:19], s38, v18
	v_sub_u32_e32 v21, 0x79, v18
	v_cmp_eq_u32_e32 vcc, 0, v18
	v_cndmask_b32_e64 v21, 0, v21, s[18:19]
	v_or_b32_e32 v28, 0x800000, v6
	v_cndmask_b32_e32 v21, v21, v5, vcc
	v_cndmask_b32_e32 v28, v28, v6, vcc
	v_add_u32_e32 v6, 20, v21
	v_lshlrev_b64 v[30:31], v6, -1
	v_add_u32_e32 v6, 19, v21
	v_lshlrev_b64 v[58:59], v6, 1
	v_mov_b32_e32 v29, v43
	v_bfi_b32 v31, v31, 0, 0
	v_bfi_b32 v30, v30, 0, v28
	v_cmp_eq_u64_e64 s[18:19], v[30:31], v[58:59]
	v_lshrrev_b64 v[30:31], v21, v[28:29]
	v_mov_b32_e32 v28, v30
	v_mov_b32_e32 v29, v31
	s_and_saveexec_b64 s[78:79], s[18:19]
; %bb.140:                              ;   in Loop: Header=BB2_108 Depth=3
	v_bfe_u32 v6, v30, 20, 1
	v_add_co_u32_e64 v6, s[18:19], v30, v6
	v_add_co_u32_e64 v28, s[18:19], -1, v6
; %bb.141:                              ;   in Loop: Header=BB2_108 Depth=3
	s_or_b64 exec, exec, s[78:79]
	v_add_u32_e32 v6, 0xffffff81, v18
	v_cndmask_b32_e32 v6, v6, v8, vcc
	v_lshrrev_b32_e32 v18, 23, v30
	v_add3_u32 v21, v21, v6, v18
	v_add_u32_e32 v6, 6, v21
	v_and_b32_e32 v18, 0xfffff, v28
	v_add_u32_e32 v30, v18, v30
	v_mov_b32_e32 v31, v43
	v_cmp_ne_u32_e32 vcc, 0, v6
                                        ; implicit-def: $vgpr18
	s_and_saveexec_b64 s[18:19], vcc
	s_xor_b64 s[18:19], exec, s[18:19]
; %bb.142:                              ;   in Loop: Header=BB2_108 Depth=3
	v_cmp_lt_u64_e32 vcc, s[58:59], v[30:31]
	v_add_u32_e32 v18, 7, v21
	v_cndmask_b32_e32 v18, v6, v18, vcc
	v_cndmask_b32_e64 v6, 0, 1, vcc
	v_lshrrev_b64 v[30:31], v6, v[30:31]
; %bb.143:                              ;   in Loop: Header=BB2_108 Depth=3
	s_andn2_saveexec_b64 s[18:19], s[18:19]
; %bb.144:                              ;   in Loop: Header=BB2_108 Depth=3
	v_bfe_u32 v18, v30, 23, 1
; %bb.145:                              ;   in Loop: Header=BB2_108 Depth=3
	s_or_b64 exec, exec, s[18:19]
	v_lshrrev_b64 v[28:29], 20, v[30:31]
	v_cmp_gt_i32_e32 vcc, 16, v18
	v_cndmask_b32_e32 v29, 0, v29, vcc
	v_cndmask_b32_e32 v28, 7, v28, vcc
	v_min_i32_e32 v6, 15, v18
	v_cmp_eq_u64_e64 s[18:19], 0, v[28:29]
	v_lshlrev_b32_e32 v6, 3, v6
	v_cmp_eq_u32_e32 vcc, 0, v18
	v_and_b32_e32 v6, 0xf8, v6
	v_and_or_b32 v6, v28, 7, v6
	s_and_b64 s[18:19], vcc, s[18:19]
	v_cndmask_b32_e64 v6, v6, 0, s[18:19]
	v_or_b32_e32 v18, v6, v0
.LBB2_146:                              ;   in Loop: Header=BB2_108 Depth=3
	s_or_b64 exec, exec, s[76:77]
                                        ; implicit-def: $vgpr0
.LBB2_147:                              ;   in Loop: Header=BB2_108 Depth=3
	s_andn2_saveexec_b64 s[18:19], s[74:75]
; %bb.148:                              ;   in Loop: Header=BB2_108 Depth=3
	v_or_b32_e32 v18, 0x7e, v0
; %bb.149:                              ;   in Loop: Header=BB2_108 Depth=3
	s_or_b64 exec, exec, s[18:19]
                                        ; implicit-def: $vgpr21
.LBB2_150:                              ;   in Loop: Header=BB2_108 Depth=3
	s_andn2_saveexec_b64 s[18:19], s[72:73]
; %bb.151:                              ;   in Loop: Header=BB2_108 Depth=3
	v_or_b32_sdwa v18, v21, s37 dst_sel:DWORD dst_unused:UNUSED_PAD src0_sel:BYTE_3 src1_sel:DWORD
; %bb.152:                              ;   in Loop: Header=BB2_108 Depth=3
	s_or_b64 exec, exec, s[18:19]
	v_lshrrev_b16_e32 v0, 8, v20
	v_cmp_ne_u16_e32 vcc, 0, v0
	v_mov_b32_e32 v21, 0
	v_mov_b32_e32 v28, 0
	s_and_saveexec_b64 s[18:19], vcc
	s_cbranch_execz .LBB2_158
; %bb.153:                              ;   in Loop: Header=BB2_108 Depth=3
	v_cmp_ne_u16_e32 vcc, s36, v0
	v_bfrev_b32_e32 v28, 1
	s_and_saveexec_b64 s[72:73], vcc
	s_cbranch_execz .LBB2_157
; %bb.154:                              ;   in Loop: Header=BB2_108 Depth=3
	v_and_b32_e32 v6, 0x7f, v0
	v_cmp_ne_u32_e32 vcc, s37, v6
	v_mov_b32_e32 v28, 0x7f800001
	s_and_saveexec_b64 s[74:75], vcc
	s_cbranch_execz .LBB2_156
; %bb.155:                              ;   in Loop: Header=BB2_108 Depth=3
	v_and_b32_e32 v30, 7, v0
	v_lshrrev_b32_e32 v31, 3, v6
	v_cmp_gt_u32_e32 vcc, 8, v6
	v_ffbh_u32_e32 v6, v30
	v_min_u32_e32 v6, 32, v6
	v_subrev_u32_e32 v28, 28, v6
	v_lshlrev_b64 v[28:29], v28, v[0:1]
	v_sub_u32_e32 v0, 29, v6
	v_and_b32_e32 v6, 7, v28
	v_cndmask_b32_e32 v0, v31, v0, vcc
	v_cndmask_b32_e32 v6, v30, v6, vcc
	v_lshlrev_b32_e32 v28, 16, v20
	v_lshlrev_b32_e32 v6, 20, v6
	v_and_b32_e32 v28, 0x80000000, v28
	v_lshl_add_u32 v0, v0, 23, v27
	v_or3_b32 v28, v28, v0, v6
.LBB2_156:                              ;   in Loop: Header=BB2_108 Depth=3
	s_or_b64 exec, exec, s[74:75]
.LBB2_157:                              ;   in Loop: Header=BB2_108 Depth=3
	s_or_b64 exec, exec, s[72:73]
.LBB2_158:                              ;   in Loop: Header=BB2_108 Depth=3
	s_or_b64 exec, exec, s[18:19]
	v_lshrrev_b16_e32 v0, 8, v42
	v_cmp_ne_u16_e32 vcc, 0, v0
	s_and_saveexec_b64 s[18:19], vcc
	s_cbranch_execz .LBB2_164
; %bb.159:                              ;   in Loop: Header=BB2_108 Depth=3
	v_cmp_ne_u16_e32 vcc, s36, v0
	v_bfrev_b32_e32 v21, 1
	s_and_saveexec_b64 s[72:73], vcc
	s_cbranch_execz .LBB2_163
; %bb.160:                              ;   in Loop: Header=BB2_108 Depth=3
	v_and_b32_e32 v6, 0x7f, v0
	v_cmp_ne_u32_e32 vcc, s37, v6
	v_mov_b32_e32 v21, 0x7f800001
	s_and_saveexec_b64 s[74:75], vcc
	s_cbranch_execz .LBB2_162
; %bb.161:                              ;   in Loop: Header=BB2_108 Depth=3
	v_and_b32_e32 v21, 7, v0
	v_lshrrev_b32_e32 v31, 3, v6
	v_cmp_gt_u32_e32 vcc, 8, v6
	v_ffbh_u32_e32 v6, v21
	v_min_u32_e32 v6, 32, v6
	v_subrev_u32_e32 v29, 28, v6
	v_lshlrev_b64 v[29:30], v29, v[0:1]
	v_sub_u32_e32 v0, 29, v6
	v_and_b32_e32 v6, 7, v29
	v_cndmask_b32_e32 v0, v31, v0, vcc
	v_cndmask_b32_e32 v6, v21, v6, vcc
	v_lshlrev_b32_e32 v21, 16, v42
	v_lshlrev_b32_e32 v6, 20, v6
	v_and_b32_e32 v21, 0x80000000, v21
	v_lshl_add_u32 v0, v0, 23, v27
	v_or3_b32 v21, v21, v0, v6
.LBB2_162:                              ;   in Loop: Header=BB2_108 Depth=3
	s_or_b64 exec, exec, s[74:75]
.LBB2_163:                              ;   in Loop: Header=BB2_108 Depth=3
	s_or_b64 exec, exec, s[72:73]
.LBB2_164:                              ;   in Loop: Header=BB2_108 Depth=3
	s_or_b64 exec, exec, s[18:19]
	v_mul_f32_e32 v21, v28, v21
	v_and_b32_e32 v28, 0x7f800000, v21
	v_mov_b32_e32 v29, v43
	v_cmp_ne_u64_e32 vcc, s[46:47], v[28:29]
                                        ; implicit-def: $vgpr34
	s_and_saveexec_b64 s[18:19], vcc
	s_xor_b64 s[72:73], exec, s[18:19]
	s_cbranch_execz .LBB2_178
; %bb.165:                              ;   in Loop: Header=BB2_108 Depth=3
	v_and_b32_e32 v28, 0x7fffffff, v21
	v_mov_b32_e32 v29, v43
	v_cmp_gt_u64_e32 vcc, s[56:57], v[28:29]
	v_and_b32_sdwa v0, v21, s36 dst_sel:DWORD dst_unused:UNUSED_PAD src0_sel:BYTE_3 src1_sel:DWORD
                                        ; implicit-def: $vgpr34
	s_and_saveexec_b64 s[18:19], vcc
	s_xor_b64 s[74:75], exec, s[18:19]
	s_cbranch_execz .LBB2_175
; %bb.166:                              ;   in Loop: Header=BB2_108 Depth=3
	v_mov_b32_e32 v34, 0
	v_cmp_ne_u32_e32 vcc, 0, v21
	s_and_saveexec_b64 s[76:77], vcc
	s_cbranch_execz .LBB2_174
; %bb.167:                              ;   in Loop: Header=BB2_108 Depth=3
	v_and_b32_e32 v6, 0x7fffff, v21
	v_bfe_u32 v21, v21, 23, 8
	v_cmp_gt_u32_e64 s[18:19], s38, v21
	v_sub_u32_e32 v28, 0x79, v21
	v_cmp_eq_u32_e32 vcc, 0, v21
	v_cndmask_b32_e64 v28, 0, v28, s[18:19]
	v_or_b32_e32 v29, 0x800000, v6
	v_cndmask_b32_e32 v34, v28, v5, vcc
	v_cndmask_b32_e32 v28, v29, v6, vcc
	v_add_u32_e32 v6, 20, v34
	v_lshlrev_b64 v[30:31], v6, -1
	v_add_u32_e32 v6, 19, v34
	v_lshlrev_b64 v[58:59], v6, 1
	v_mov_b32_e32 v29, v43
	v_bfi_b32 v31, v31, 0, 0
	v_bfi_b32 v30, v30, 0, v28
	v_cmp_eq_u64_e64 s[18:19], v[30:31], v[58:59]
	v_lshrrev_b64 v[30:31], v34, v[28:29]
	v_mov_b32_e32 v28, v30
	v_mov_b32_e32 v29, v31
	s_and_saveexec_b64 s[78:79], s[18:19]
; %bb.168:                              ;   in Loop: Header=BB2_108 Depth=3
	v_bfe_u32 v6, v30, 20, 1
	v_add_co_u32_e64 v6, s[18:19], v30, v6
	v_add_co_u32_e64 v28, s[18:19], -1, v6
; %bb.169:                              ;   in Loop: Header=BB2_108 Depth=3
	s_or_b64 exec, exec, s[78:79]
	v_add_u32_e32 v6, 0xffffff81, v21
	v_cndmask_b32_e32 v6, v6, v8, vcc
	v_lshrrev_b32_e32 v21, 23, v30
	v_add3_u32 v29, v34, v6, v21
	v_add_u32_e32 v6, 6, v29
	v_and_b32_e32 v21, 0xfffff, v28
	v_add_u32_e32 v30, v21, v30
	v_mov_b32_e32 v31, v43
	v_cmp_ne_u32_e32 vcc, 0, v6
                                        ; implicit-def: $vgpr21
	s_and_saveexec_b64 s[18:19], vcc
	s_xor_b64 s[18:19], exec, s[18:19]
; %bb.170:                              ;   in Loop: Header=BB2_108 Depth=3
	v_cmp_lt_u64_e32 vcc, s[58:59], v[30:31]
	v_add_u32_e32 v21, 7, v29
	v_cndmask_b32_e32 v21, v6, v21, vcc
	v_cndmask_b32_e64 v6, 0, 1, vcc
	v_lshrrev_b64 v[30:31], v6, v[30:31]
; %bb.171:                              ;   in Loop: Header=BB2_108 Depth=3
	s_andn2_saveexec_b64 s[18:19], s[18:19]
; %bb.172:                              ;   in Loop: Header=BB2_108 Depth=3
	v_bfe_u32 v21, v30, 23, 1
; %bb.173:                              ;   in Loop: Header=BB2_108 Depth=3
	s_or_b64 exec, exec, s[18:19]
	v_lshrrev_b64 v[28:29], 20, v[30:31]
	v_cmp_gt_i32_e32 vcc, 16, v21
	v_cndmask_b32_e32 v29, 0, v29, vcc
	v_cndmask_b32_e32 v28, 7, v28, vcc
	v_min_i32_e32 v6, 15, v21
	v_cmp_eq_u64_e64 s[18:19], 0, v[28:29]
	v_lshlrev_b32_e32 v6, 3, v6
	v_cmp_eq_u32_e32 vcc, 0, v21
	v_and_b32_e32 v6, 0xf8, v6
	v_and_or_b32 v6, v28, 7, v6
	s_and_b64 s[18:19], vcc, s[18:19]
	v_cndmask_b32_e64 v6, v6, 0, s[18:19]
	v_or_b32_e32 v34, v6, v0
.LBB2_174:                              ;   in Loop: Header=BB2_108 Depth=3
	s_or_b64 exec, exec, s[76:77]
                                        ; implicit-def: $vgpr0
.LBB2_175:                              ;   in Loop: Header=BB2_108 Depth=3
	s_andn2_saveexec_b64 s[18:19], s[74:75]
; %bb.176:                              ;   in Loop: Header=BB2_108 Depth=3
	v_or_b32_e32 v34, 0x7e, v0
; %bb.177:                              ;   in Loop: Header=BB2_108 Depth=3
	s_or_b64 exec, exec, s[18:19]
                                        ; implicit-def: $vgpr21
.LBB2_178:                              ;   in Loop: Header=BB2_108 Depth=3
	s_andn2_saveexec_b64 s[18:19], s[72:73]
; %bb.179:                              ;   in Loop: Header=BB2_108 Depth=3
	v_or_b32_sdwa v34, v21, s37 dst_sel:DWORD dst_unused:UNUSED_PAD src0_sel:BYTE_3 src1_sel:DWORD
; %bb.180:                              ;   in Loop: Header=BB2_108 Depth=3
	s_or_b64 exec, exec, s[18:19]
	v_lshrrev_b32_e32 v0, 16, v20
	v_cmp_ne_u16_sdwa s[72:73], v0, v43 src0_sel:BYTE_0 src1_sel:DWORD
	v_mov_b32_e32 v21, 0
	v_mov_b32_e32 v28, 0
	s_and_saveexec_b64 s[18:19], s[72:73]
	s_cbranch_execz .LBB2_186
; %bb.181:                              ;   in Loop: Header=BB2_108 Depth=3
	v_cmp_ne_u16_sdwa s[74:75], v0, s36 src0_sel:BYTE_0 src1_sel:DWORD
	v_bfrev_b32_e32 v28, 1
	s_and_saveexec_b64 s[72:73], s[74:75]
	s_cbranch_execz .LBB2_185
; %bb.182:                              ;   in Loop: Header=BB2_108 Depth=3
	v_bfe_u32 v6, v20, 16, 7
	v_cmp_ne_u32_e32 vcc, s37, v6
	v_mov_b32_e32 v28, 0x7f800001
	s_and_saveexec_b64 s[74:75], vcc
	s_cbranch_execz .LBB2_184
; %bb.183:                              ;   in Loop: Header=BB2_108 Depth=3
	v_and_b32_e32 v30, 7, v0
	v_lshrrev_b32_e32 v31, 3, v6
	v_cmp_gt_u32_e32 vcc, 8, v6
	v_ffbh_u32_e32 v6, v30
	v_min_u32_e32 v6, 32, v6
	v_subrev_u32_e32 v28, 28, v6
	v_lshlrev_b64 v[28:29], v28, v[0:1]
	v_sub_u32_e32 v6, 29, v6
	v_and_b32_e32 v28, 7, v28
	v_cndmask_b32_e32 v6, v31, v6, vcc
	v_cndmask_b32_e32 v28, v30, v28, vcc
	v_lshlrev_b32_e32 v0, 24, v0
	v_lshlrev_b32_e32 v28, 20, v28
	v_and_b32_e32 v0, 0x80000000, v0
	v_lshl_add_u32 v6, v6, 23, v27
	v_or3_b32 v28, v0, v6, v28
.LBB2_184:                              ;   in Loop: Header=BB2_108 Depth=3
	s_or_b64 exec, exec, s[74:75]
.LBB2_185:                              ;   in Loop: Header=BB2_108 Depth=3
	s_or_b64 exec, exec, s[72:73]
.LBB2_186:                              ;   in Loop: Header=BB2_108 Depth=3
	s_or_b64 exec, exec, s[18:19]
	v_and_b32_sdwa v6, v42, s35 dst_sel:DWORD dst_unused:UNUSED_PAD src0_sel:WORD_1 src1_sel:DWORD
	v_lshrrev_b32_e32 v0, 16, v42
	v_cmp_ne_u16_e32 vcc, 0, v6
	s_and_saveexec_b64 s[18:19], vcc
	s_cbranch_execz .LBB2_192
; %bb.187:                              ;   in Loop: Header=BB2_108 Depth=3
	v_cmp_ne_u16_e32 vcc, s36, v6
	v_bfrev_b32_e32 v21, 1
	s_and_saveexec_b64 s[72:73], vcc
	s_cbranch_execz .LBB2_191
; %bb.188:                              ;   in Loop: Header=BB2_108 Depth=3
	v_bfe_u32 v6, v42, 16, 7
	v_cmp_ne_u32_e32 vcc, s37, v6
	v_mov_b32_e32 v21, 0x7f800001
	s_and_saveexec_b64 s[74:75], vcc
	s_cbranch_execz .LBB2_190
; %bb.189:                              ;   in Loop: Header=BB2_108 Depth=3
	v_and_b32_e32 v21, 7, v0
	v_lshrrev_b32_e32 v31, 3, v6
	v_cmp_gt_u32_e32 vcc, 8, v6
	v_ffbh_u32_e32 v6, v21
	v_min_u32_e32 v6, 32, v6
	v_subrev_u32_e32 v29, 28, v6
	v_lshlrev_b64 v[29:30], v29, v[0:1]
	v_sub_u32_e32 v0, 29, v6
	v_and_b32_e32 v6, 7, v29
	v_cndmask_b32_e32 v0, v31, v0, vcc
	v_cndmask_b32_e32 v6, v21, v6, vcc
	v_lshlrev_b32_e32 v21, 8, v42
	v_lshlrev_b32_e32 v6, 20, v6
	v_and_b32_e32 v21, 0x80000000, v21
	v_lshl_add_u32 v0, v0, 23, v27
	v_or3_b32 v21, v21, v0, v6
.LBB2_190:                              ;   in Loop: Header=BB2_108 Depth=3
	s_or_b64 exec, exec, s[74:75]
.LBB2_191:                              ;   in Loop: Header=BB2_108 Depth=3
	s_or_b64 exec, exec, s[72:73]
.LBB2_192:                              ;   in Loop: Header=BB2_108 Depth=3
	s_or_b64 exec, exec, s[18:19]
	v_mul_f32_e32 v21, v28, v21
	v_and_b32_e32 v28, 0x7f800000, v21
	v_mov_b32_e32 v29, v43
	v_cmp_ne_u64_e32 vcc, s[46:47], v[28:29]
                                        ; implicit-def: $vgpr30
	s_and_saveexec_b64 s[18:19], vcc
	s_xor_b64 s[72:73], exec, s[18:19]
	s_cbranch_execz .LBB2_206
; %bb.193:                              ;   in Loop: Header=BB2_108 Depth=3
	v_and_b32_e32 v28, 0x7fffffff, v21
	v_mov_b32_e32 v29, v43
	v_cmp_gt_u64_e32 vcc, s[56:57], v[28:29]
	v_and_b32_sdwa v0, v21, s36 dst_sel:DWORD dst_unused:UNUSED_PAD src0_sel:BYTE_3 src1_sel:DWORD
                                        ; implicit-def: $vgpr30
	s_and_saveexec_b64 s[18:19], vcc
	s_xor_b64 s[74:75], exec, s[18:19]
	s_cbranch_execz .LBB2_203
; %bb.194:                              ;   in Loop: Header=BB2_108 Depth=3
	v_mov_b32_e32 v30, 0
	v_cmp_ne_u32_e32 vcc, 0, v21
	s_and_saveexec_b64 s[76:77], vcc
	s_cbranch_execz .LBB2_202
; %bb.195:                              ;   in Loop: Header=BB2_108 Depth=3
	v_and_b32_e32 v28, 0x7fffff, v21
	v_bfe_u32 v21, v21, 23, 8
	v_cmp_gt_u32_e64 s[18:19], s38, v21
	v_sub_u32_e32 v6, 0x79, v21
	v_cmp_eq_u32_e32 vcc, 0, v21
	v_cndmask_b32_e64 v6, 0, v6, s[18:19]
	v_cndmask_b32_e32 v6, v6, v5, vcc
	v_add_u32_e32 v30, 20, v6
	v_or_b32_e32 v29, 0x800000, v28
	v_lshlrev_b64 v[30:31], v30, -1
	v_add_u32_e32 v58, 19, v6
	v_cndmask_b32_e32 v28, v29, v28, vcc
	v_lshlrev_b64 v[58:59], v58, 1
	v_mov_b32_e32 v29, v43
	v_bfi_b32 v31, v31, 0, 0
	v_bfi_b32 v30, v30, 0, v28
	v_cmp_eq_u64_e64 s[18:19], v[30:31], v[58:59]
	v_lshrrev_b64 v[30:31], v6, v[28:29]
	v_mov_b32_e32 v28, v30
	v_mov_b32_e32 v29, v31
	s_and_saveexec_b64 s[78:79], s[18:19]
; %bb.196:                              ;   in Loop: Header=BB2_108 Depth=3
	v_bfe_u32 v28, v30, 20, 1
	v_add_co_u32_e64 v28, s[18:19], v30, v28
	v_add_co_u32_e64 v28, s[18:19], -1, v28
; %bb.197:                              ;   in Loop: Header=BB2_108 Depth=3
	s_or_b64 exec, exec, s[78:79]
	v_add_u32_e32 v21, 0xffffff81, v21
	v_cndmask_b32_e32 v21, v21, v8, vcc
	v_lshrrev_b32_e32 v29, 23, v30
	v_add3_u32 v29, v6, v21, v29
	v_add_u32_e32 v6, 6, v29
	v_and_b32_e32 v21, 0xfffff, v28
	v_add_u32_e32 v30, v21, v30
	v_mov_b32_e32 v31, v43
	v_cmp_ne_u32_e32 vcc, 0, v6
                                        ; implicit-def: $vgpr21
	s_and_saveexec_b64 s[18:19], vcc
	s_xor_b64 s[18:19], exec, s[18:19]
; %bb.198:                              ;   in Loop: Header=BB2_108 Depth=3
	v_cmp_lt_u64_e32 vcc, s[58:59], v[30:31]
	v_add_u32_e32 v21, 7, v29
	v_cndmask_b32_e32 v21, v6, v21, vcc
	v_cndmask_b32_e64 v6, 0, 1, vcc
	v_lshrrev_b64 v[30:31], v6, v[30:31]
; %bb.199:                              ;   in Loop: Header=BB2_108 Depth=3
	s_andn2_saveexec_b64 s[18:19], s[18:19]
; %bb.200:                              ;   in Loop: Header=BB2_108 Depth=3
	v_bfe_u32 v21, v30, 23, 1
; %bb.201:                              ;   in Loop: Header=BB2_108 Depth=3
	s_or_b64 exec, exec, s[18:19]
	v_lshrrev_b64 v[28:29], 20, v[30:31]
	v_cmp_gt_i32_e32 vcc, 16, v21
	v_cndmask_b32_e32 v29, 0, v29, vcc
	v_cndmask_b32_e32 v28, 7, v28, vcc
	v_min_i32_e32 v6, 15, v21
	v_cmp_eq_u64_e64 s[18:19], 0, v[28:29]
	v_lshlrev_b32_e32 v6, 3, v6
	v_cmp_eq_u32_e32 vcc, 0, v21
	v_and_b32_e32 v6, 0xf8, v6
	v_and_or_b32 v6, v28, 7, v6
	s_and_b64 s[18:19], vcc, s[18:19]
	v_cndmask_b32_e64 v6, v6, 0, s[18:19]
	v_or_b32_e32 v30, v6, v0
.LBB2_202:                              ;   in Loop: Header=BB2_108 Depth=3
	s_or_b64 exec, exec, s[76:77]
                                        ; implicit-def: $vgpr0
.LBB2_203:                              ;   in Loop: Header=BB2_108 Depth=3
	s_andn2_saveexec_b64 s[18:19], s[74:75]
; %bb.204:                              ;   in Loop: Header=BB2_108 Depth=3
	v_or_b32_e32 v30, 0x7e, v0
; %bb.205:                              ;   in Loop: Header=BB2_108 Depth=3
	s_or_b64 exec, exec, s[18:19]
                                        ; implicit-def: $vgpr21
.LBB2_206:                              ;   in Loop: Header=BB2_108 Depth=3
	s_andn2_saveexec_b64 s[18:19], s[72:73]
; %bb.207:                              ;   in Loop: Header=BB2_108 Depth=3
	v_or_b32_sdwa v30, v21, s37 dst_sel:DWORD dst_unused:UNUSED_PAD src0_sel:BYTE_3 src1_sel:DWORD
; %bb.208:                              ;   in Loop: Header=BB2_108 Depth=3
	s_or_b64 exec, exec, s[18:19]
	v_cmp_lt_u32_e32 vcc, s39, v20
	v_mov_b32_e32 v21, 0
	v_mov_b32_e32 v28, 0
	s_and_saveexec_b64 s[18:19], vcc
	s_cbranch_execz .LBB2_214
; %bb.209:                              ;   in Loop: Header=BB2_108 Depth=3
	v_lshrrev_b32_e32 v0, 24, v20
	v_cmp_ne_u32_e32 vcc, s36, v0
	v_bfrev_b32_e32 v28, 1
	s_and_saveexec_b64 s[72:73], vcc
	s_cbranch_execz .LBB2_213
; %bb.210:                              ;   in Loop: Header=BB2_108 Depth=3
	v_bfe_u32 v6, v20, 24, 7
	v_cmp_ne_u32_e32 vcc, s37, v6
	v_mov_b32_e32 v28, 0x7f800001
	s_and_saveexec_b64 s[74:75], vcc
	s_cbranch_execz .LBB2_212
; %bb.211:                              ;   in Loop: Header=BB2_108 Depth=3
	v_and_b32_e32 v20, 7, v0
	v_lshrrev_b32_e32 v31, 3, v6
	v_cmp_gt_u32_e32 vcc, 8, v6
	v_ffbh_u32_e32 v6, v20
	v_min_u32_e32 v6, 32, v6
	v_subrev_u32_e32 v28, 28, v6
	v_lshlrev_b64 v[28:29], v28, v[0:1]
	v_sub_u32_e32 v6, 29, v6
	v_and_b32_e32 v28, 7, v28
	v_cndmask_b32_e32 v6, v31, v6, vcc
	v_cndmask_b32_e32 v20, v20, v28, vcc
	v_lshlrev_b32_e32 v0, 24, v0
	v_lshlrev_b32_e32 v20, 20, v20
	v_and_b32_e32 v0, 0x80000000, v0
	v_lshl_add_u32 v6, v6, 23, v27
	v_or3_b32 v28, v0, v6, v20
.LBB2_212:                              ;   in Loop: Header=BB2_108 Depth=3
	s_or_b64 exec, exec, s[74:75]
.LBB2_213:                              ;   in Loop: Header=BB2_108 Depth=3
	s_or_b64 exec, exec, s[72:73]
.LBB2_214:                              ;   in Loop: Header=BB2_108 Depth=3
	s_or_b64 exec, exec, s[18:19]
	v_cmp_lt_u32_e32 vcc, s39, v42
	s_and_saveexec_b64 s[18:19], vcc
	s_cbranch_execz .LBB2_220
; %bb.215:                              ;   in Loop: Header=BB2_108 Depth=3
	v_lshrrev_b32_e32 v0, 24, v42
	v_cmp_ne_u32_sdwa s[74:75], v42, s36 src0_sel:BYTE_3 src1_sel:DWORD
	v_bfrev_b32_e32 v21, 1
	s_and_saveexec_b64 s[72:73], s[74:75]
	s_cbranch_execz .LBB2_219
; %bb.216:                              ;   in Loop: Header=BB2_108 Depth=3
	v_bfe_u32 v6, v42, 24, 7
	v_cmp_ne_u32_e32 vcc, s37, v6
	v_mov_b32_e32 v21, 0x7f800001
	s_and_saveexec_b64 s[74:75], vcc
	s_cbranch_execz .LBB2_218
; %bb.217:                              ;   in Loop: Header=BB2_108 Depth=3
	v_and_b32_e32 v29, 7, v0
	v_lshrrev_b32_e32 v31, 3, v6
	v_cmp_gt_u32_e32 vcc, 8, v6
	v_ffbh_u32_e32 v6, v29
	v_min_u32_e32 v6, 32, v6
	v_subrev_u32_e32 v20, 28, v6
	v_lshlrev_b64 v[20:21], v20, v[0:1]
	v_sub_u32_e32 v0, 29, v6
	v_and_b32_e32 v6, 7, v20
	v_cndmask_b32_e32 v0, v31, v0, vcc
	v_cndmask_b32_e32 v6, v29, v6, vcc
	v_lshlrev_b32_sdwa v20, v9, v42 dst_sel:DWORD dst_unused:UNUSED_PAD src0_sel:DWORD src1_sel:BYTE_3
	v_lshlrev_b32_e32 v6, 20, v6
	v_and_b32_e32 v20, 0x80000000, v20
	v_lshl_add_u32 v0, v0, 23, v27
	v_or3_b32 v21, v20, v0, v6
.LBB2_218:                              ;   in Loop: Header=BB2_108 Depth=3
	s_or_b64 exec, exec, s[74:75]
.LBB2_219:                              ;   in Loop: Header=BB2_108 Depth=3
	s_or_b64 exec, exec, s[72:73]
.LBB2_220:                              ;   in Loop: Header=BB2_108 Depth=3
	s_or_b64 exec, exec, s[18:19]
	v_mul_f32_e32 v20, v28, v21
	v_and_b32_e32 v42, 0x7f800000, v20
	v_cmp_ne_u64_e32 vcc, s[46:47], v[42:43]
                                        ; implicit-def: $vgpr31
	s_and_saveexec_b64 s[18:19], vcc
	s_xor_b64 s[72:73], exec, s[18:19]
	s_cbranch_execz .LBB2_234
; %bb.221:                              ;   in Loop: Header=BB2_108 Depth=3
	v_and_b32_e32 v42, 0x7fffffff, v20
	v_cmp_gt_u64_e32 vcc, s[56:57], v[42:43]
	v_and_b32_sdwa v0, v20, s36 dst_sel:DWORD dst_unused:UNUSED_PAD src0_sel:BYTE_3 src1_sel:DWORD
                                        ; implicit-def: $vgpr31
	s_and_saveexec_b64 s[18:19], vcc
	s_xor_b64 s[74:75], exec, s[18:19]
	s_cbranch_execz .LBB2_231
; %bb.222:                              ;   in Loop: Header=BB2_108 Depth=3
	v_mov_b32_e32 v31, 0
	v_cmp_ne_u32_e32 vcc, 0, v20
	s_and_saveexec_b64 s[76:77], vcc
	s_cbranch_execz .LBB2_230
; %bb.223:                              ;   in Loop: Header=BB2_108 Depth=3
	v_bfe_u32 v31, v20, 23, 8
	v_cmp_gt_u32_e64 s[18:19], s38, v31
	v_sub_u32_e32 v6, 0x79, v31
	v_and_b32_e32 v21, 0x7fffff, v20
	v_cmp_eq_u32_e32 vcc, 0, v31
	v_cndmask_b32_e64 v6, 0, v6, s[18:19]
	v_or_b32_e32 v20, 0x800000, v21
	v_cndmask_b32_e32 v6, v6, v5, vcc
	v_cndmask_b32_e32 v42, v20, v21, vcc
	v_add_u32_e32 v20, 20, v6
	v_lshlrev_b64 v[20:21], v20, -1
	v_add_u32_e32 v28, 19, v6
	v_lshlrev_b64 v[28:29], v28, 1
	v_bfi_b32 v21, v21, 0, 0
	v_bfi_b32 v20, v20, 0, v42
	v_cmp_eq_u64_e64 s[18:19], v[20:21], v[28:29]
	v_lshrrev_b64 v[20:21], v6, v[42:43]
	v_mov_b32_e32 v29, v21
	v_mov_b32_e32 v28, v20
	s_and_saveexec_b64 s[78:79], s[18:19]
; %bb.224:                              ;   in Loop: Header=BB2_108 Depth=3
	v_bfe_u32 v21, v20, 20, 1
	v_add_co_u32_e64 v21, s[18:19], v20, v21
	v_add_co_u32_e64 v28, s[18:19], -1, v21
; %bb.225:                              ;   in Loop: Header=BB2_108 Depth=3
	s_or_b64 exec, exec, s[78:79]
	v_add_u32_e32 v21, 0xffffff81, v31
	v_cndmask_b32_e32 v21, v21, v8, vcc
	v_lshrrev_b32_e32 v29, 23, v20
	v_add3_u32 v29, v6, v21, v29
	v_add_u32_e32 v6, 6, v29
	v_and_b32_e32 v21, 0xfffff, v28
	v_add_u32_e32 v42, v21, v20
	v_cmp_ne_u32_e32 vcc, 0, v6
                                        ; implicit-def: $vgpr20_vgpr21
                                        ; implicit-def: $vgpr28
	s_and_saveexec_b64 s[18:19], vcc
	s_xor_b64 s[18:19], exec, s[18:19]
; %bb.226:                              ;   in Loop: Header=BB2_108 Depth=3
	v_cmp_lt_u64_e32 vcc, s[58:59], v[42:43]
	v_add_u32_e32 v20, 7, v29
	v_cndmask_b32_e32 v28, v6, v20, vcc
	v_cndmask_b32_e64 v6, 0, 1, vcc
	v_lshrrev_b64 v[20:21], v6, v[42:43]
; %bb.227:                              ;   in Loop: Header=BB2_108 Depth=3
	s_andn2_saveexec_b64 s[18:19], s[18:19]
; %bb.228:                              ;   in Loop: Header=BB2_108 Depth=3
	v_mov_b32_e32 v20, v42
	v_bfe_u32 v28, v42, 23, 1
	v_mov_b32_e32 v21, v43
; %bb.229:                              ;   in Loop: Header=BB2_108 Depth=3
	s_or_b64 exec, exec, s[18:19]
	v_lshrrev_b64 v[20:21], 20, v[20:21]
	v_cmp_gt_i32_e32 vcc, 16, v28
	v_cndmask_b32_e32 v21, 0, v21, vcc
	v_cndmask_b32_e32 v20, 7, v20, vcc
	v_min_i32_e32 v6, 15, v28
	v_cmp_eq_u64_e64 s[18:19], 0, v[20:21]
	v_lshlrev_b32_e32 v6, 3, v6
	v_cmp_eq_u32_e32 vcc, 0, v28
	v_and_b32_e32 v6, 0xf8, v6
	v_and_or_b32 v6, v20, 7, v6
	s_and_b64 s[18:19], vcc, s[18:19]
	v_cndmask_b32_e64 v6, v6, 0, s[18:19]
	v_or_b32_e32 v31, v6, v0
.LBB2_230:                              ;   in Loop: Header=BB2_108 Depth=3
	s_or_b64 exec, exec, s[76:77]
                                        ; implicit-def: $vgpr0
.LBB2_231:                              ;   in Loop: Header=BB2_108 Depth=3
	s_andn2_saveexec_b64 s[18:19], s[74:75]
; %bb.232:                              ;   in Loop: Header=BB2_108 Depth=3
	v_or_b32_e32 v31, 0x7e, v0
; %bb.233:                              ;   in Loop: Header=BB2_108 Depth=3
	s_or_b64 exec, exec, s[18:19]
                                        ; implicit-def: $vgpr20
.LBB2_234:                              ;   in Loop: Header=BB2_108 Depth=3
	s_andn2_saveexec_b64 s[18:19], s[72:73]
; %bb.235:                              ;   in Loop: Header=BB2_108 Depth=3
	v_or_b32_sdwa v31, v20, s37 dst_sel:DWORD dst_unused:UNUSED_PAD src0_sel:BYTE_3 src1_sel:DWORD
; %bb.236:                              ;   in Loop: Header=BB2_108 Depth=3
	s_or_b64 exec, exec, s[18:19]
	v_cmp_ne_u16_sdwa s[72:73], v22, v43 src0_sel:BYTE_0 src1_sel:DWORD
	v_mov_b32_e32 v0, 0
	v_mov_b32_e32 v20, 0
	s_and_saveexec_b64 s[18:19], s[72:73]
	s_cbranch_execz .LBB2_242
; %bb.237:                              ;   in Loop: Header=BB2_108 Depth=3
	v_cmp_ne_u16_sdwa s[74:75], v22, s36 src0_sel:BYTE_0 src1_sel:DWORD
	v_bfrev_b32_e32 v20, 1
	s_and_saveexec_b64 s[72:73], s[74:75]
	s_cbranch_execz .LBB2_241
; %bb.238:                              ;   in Loop: Header=BB2_108 Depth=3
	v_and_b32_e32 v6, 0x7f, v22
	v_cmp_ne_u32_e32 vcc, s37, v6
	v_mov_b32_e32 v20, 0x7f800001
	s_and_saveexec_b64 s[74:75], vcc
	s_cbranch_execz .LBB2_240
; %bb.239:                              ;   in Loop: Header=BB2_108 Depth=3
	v_and_b32_e32 v20, 7, v22
	v_lshrrev_b32_e32 v21, 3, v6
	v_cmp_gt_u32_e32 vcc, 8, v6
	v_ffbh_u32_e32 v6, v20
	v_min_u32_e32 v6, 32, v6
	v_subrev_u32_e32 v20, 28, v6
	v_sub_u32_e32 v6, 29, v6
	v_cndmask_b32_e32 v20, 0, v20, vcc
	v_cndmask_b32_e32 v6, v21, v6, vcc
	v_lshlrev_b64 v[20:21], v20, v[22:23]
	v_lshlrev_b32_e32 v21, 24, v22
	v_lshlrev_b32_e32 v20, 20, v20
	v_and_b32_e32 v20, 0x700000, v20
	v_and_b32_e32 v21, 0x80000000, v21
	v_lshl_add_u32 v6, v6, 23, v27
	v_or3_b32 v20, v21, v6, v20
.LBB2_240:                              ;   in Loop: Header=BB2_108 Depth=3
	s_or_b64 exec, exec, s[74:75]
.LBB2_241:                              ;   in Loop: Header=BB2_108 Depth=3
	s_or_b64 exec, exec, s[72:73]
.LBB2_242:                              ;   in Loop: Header=BB2_108 Depth=3
	s_or_b64 exec, exec, s[18:19]
	v_alignbit_b32 v42, v35, v46, v47
	v_cmp_ne_u16_sdwa s[72:73], v42, v43 src0_sel:BYTE_0 src1_sel:DWORD
	s_and_saveexec_b64 s[18:19], s[72:73]
	s_cbranch_execz .LBB2_248
; %bb.243:                              ;   in Loop: Header=BB2_108 Depth=3
	v_cmp_ne_u16_sdwa s[74:75], v42, s36 src0_sel:BYTE_0 src1_sel:DWORD
	v_bfrev_b32_e32 v0, 1
	s_and_saveexec_b64 s[72:73], s[74:75]
	s_cbranch_execz .LBB2_247
; %bb.244:                              ;   in Loop: Header=BB2_108 Depth=3
	v_and_b32_e32 v6, 0x7f, v42
	v_cmp_ne_u32_e32 vcc, s37, v6
	v_mov_b32_e32 v0, 0x7f800001
	s_and_saveexec_b64 s[74:75], vcc
	s_cbranch_execz .LBB2_246
; %bb.245:                              ;   in Loop: Header=BB2_108 Depth=3
	v_and_b32_e32 v0, 7, v42
	v_ffbh_u32_e32 v0, v0
	v_min_u32_e32 v0, 32, v0
	v_lshrrev_b32_e32 v21, 3, v6
	v_cmp_gt_u32_e32 vcc, 8, v6
	v_subrev_u32_e32 v6, 28, v0
	v_cndmask_b32_e32 v6, 0, v6, vcc
	v_lshlrev_b64 v[28:29], v6, v[42:43]
	v_sub_u32_e32 v0, 29, v0
	v_cndmask_b32_e32 v0, v21, v0, vcc
	v_lshlrev_b32_e32 v6, 20, v28
	v_lshlrev_b32_e32 v21, 24, v42
	v_and_b32_e32 v6, 0x700000, v6
	v_and_b32_e32 v21, 0x80000000, v21
	v_lshl_add_u32 v0, v0, 23, v27
	v_or3_b32 v0, v21, v0, v6
.LBB2_246:                              ;   in Loop: Header=BB2_108 Depth=3
	s_or_b64 exec, exec, s[74:75]
.LBB2_247:                              ;   in Loop: Header=BB2_108 Depth=3
	s_or_b64 exec, exec, s[72:73]
.LBB2_248:                              ;   in Loop: Header=BB2_108 Depth=3
	s_or_b64 exec, exec, s[18:19]
	v_mul_f32_e32 v20, v20, v0
	v_and_b32_e32 v28, 0x7f800000, v20
	v_mov_b32_e32 v29, v43
	v_cmp_ne_u64_e32 vcc, s[46:47], v[28:29]
                                        ; implicit-def: $vgpr23
	s_and_saveexec_b64 s[18:19], vcc
	s_xor_b64 s[72:73], exec, s[18:19]
	s_cbranch_execz .LBB2_262
; %bb.249:                              ;   in Loop: Header=BB2_108 Depth=3
	v_and_b32_e32 v28, 0x7fffffff, v20
	v_mov_b32_e32 v29, v43
	v_cmp_gt_u64_e32 vcc, s[56:57], v[28:29]
	v_and_b32_sdwa v0, v20, s36 dst_sel:DWORD dst_unused:UNUSED_PAD src0_sel:BYTE_3 src1_sel:DWORD
                                        ; implicit-def: $vgpr23
	s_and_saveexec_b64 s[18:19], vcc
	s_xor_b64 s[74:75], exec, s[18:19]
	s_cbranch_execz .LBB2_259
; %bb.250:                              ;   in Loop: Header=BB2_108 Depth=3
	v_mov_b32_e32 v23, 0
	v_cmp_ne_u32_e32 vcc, 0, v20
	s_and_saveexec_b64 s[76:77], vcc
	s_cbranch_execz .LBB2_258
; %bb.251:                              ;   in Loop: Header=BB2_108 Depth=3
	v_bfe_u32 v23, v20, 23, 8
	v_cmp_gt_u32_e64 s[18:19], s38, v23
	v_sub_u32_e32 v6, 0x79, v23
	v_cmp_eq_u32_e32 vcc, 0, v23
	v_cndmask_b32_e64 v6, 0, v6, s[18:19]
	v_cndmask_b32_e32 v6, v6, v5, vcc
	v_and_b32_e32 v21, 0x7fffff, v20
	v_add_u32_e32 v28, 20, v6
	v_or_b32_e32 v20, 0x800000, v21
	v_lshlrev_b64 v[28:29], v28, -1
	v_cndmask_b32_e32 v20, v20, v21, vcc
	v_mov_b32_e32 v21, v43
	v_add_u32_e32 v35, 19, v6
	v_bfi_b32 v28, v28, 0, v20
	v_lshlrev_b64 v[46:47], v35, 1
	v_lshrrev_b64 v[20:21], v6, v[20:21]
	v_bfi_b32 v29, v29, 0, 0
	v_cmp_eq_u64_e64 s[18:19], v[28:29], v[46:47]
	v_mov_b32_e32 v29, v21
	v_mov_b32_e32 v28, v20
	s_and_saveexec_b64 s[78:79], s[18:19]
; %bb.252:                              ;   in Loop: Header=BB2_108 Depth=3
	v_bfe_u32 v21, v20, 20, 1
	v_add_co_u32_e64 v21, s[18:19], v20, v21
	v_add_co_u32_e64 v28, s[18:19], -1, v21
; %bb.253:                              ;   in Loop: Header=BB2_108 Depth=3
	s_or_b64 exec, exec, s[78:79]
	v_add_u32_e32 v21, 0xffffff81, v23
	v_cndmask_b32_e32 v21, v21, v8, vcc
	v_lshrrev_b32_e32 v23, 23, v20
	v_add3_u32 v29, v6, v21, v23
	v_add_u32_e32 v6, 6, v29
	v_and_b32_e32 v21, 0xfffff, v28
	v_add_u32_e32 v20, v21, v20
	v_mov_b32_e32 v21, v43
	v_cmp_ne_u32_e32 vcc, 0, v6
                                        ; implicit-def: $vgpr23
	s_and_saveexec_b64 s[18:19], vcc
	s_xor_b64 s[18:19], exec, s[18:19]
; %bb.254:                              ;   in Loop: Header=BB2_108 Depth=3
	v_cmp_lt_u64_e32 vcc, s[58:59], v[20:21]
	v_add_u32_e32 v23, 7, v29
	v_cndmask_b32_e32 v23, v6, v23, vcc
	v_cndmask_b32_e64 v6, 0, 1, vcc
	v_lshrrev_b64 v[20:21], v6, v[20:21]
; %bb.255:                              ;   in Loop: Header=BB2_108 Depth=3
	s_andn2_saveexec_b64 s[18:19], s[18:19]
; %bb.256:                              ;   in Loop: Header=BB2_108 Depth=3
	v_bfe_u32 v23, v20, 23, 1
; %bb.257:                              ;   in Loop: Header=BB2_108 Depth=3
	s_or_b64 exec, exec, s[18:19]
	v_lshrrev_b64 v[20:21], 20, v[20:21]
	v_cmp_gt_i32_e32 vcc, 16, v23
	v_cndmask_b32_e32 v21, 0, v21, vcc
	v_cndmask_b32_e32 v20, 7, v20, vcc
	v_min_i32_e32 v6, 15, v23
	v_cmp_eq_u64_e64 s[18:19], 0, v[20:21]
	v_lshlrev_b32_e32 v6, 3, v6
	v_cmp_eq_u32_e32 vcc, 0, v23
	v_and_b32_e32 v6, 0xf8, v6
	v_and_or_b32 v6, v20, 7, v6
	s_and_b64 s[18:19], vcc, s[18:19]
	v_cndmask_b32_e64 v6, v6, 0, s[18:19]
	v_or_b32_e32 v23, v6, v0
.LBB2_258:                              ;   in Loop: Header=BB2_108 Depth=3
	s_or_b64 exec, exec, s[76:77]
                                        ; implicit-def: $vgpr0
.LBB2_259:                              ;   in Loop: Header=BB2_108 Depth=3
	s_andn2_saveexec_b64 s[18:19], s[74:75]
; %bb.260:                              ;   in Loop: Header=BB2_108 Depth=3
	v_or_b32_e32 v23, 0x7e, v0
; %bb.261:                              ;   in Loop: Header=BB2_108 Depth=3
	s_or_b64 exec, exec, s[18:19]
                                        ; implicit-def: $vgpr20
.LBB2_262:                              ;   in Loop: Header=BB2_108 Depth=3
	s_andn2_saveexec_b64 s[18:19], s[72:73]
; %bb.263:                              ;   in Loop: Header=BB2_108 Depth=3
	v_or_b32_sdwa v23, v20, s37 dst_sel:DWORD dst_unused:UNUSED_PAD src0_sel:BYTE_3 src1_sel:DWORD
; %bb.264:                              ;   in Loop: Header=BB2_108 Depth=3
	s_or_b64 exec, exec, s[18:19]
	v_lshrrev_b16_e32 v0, 8, v22
	v_cmp_ne_u16_e32 vcc, 0, v0
	v_mov_b32_e32 v20, 0
	v_mov_b32_e32 v21, 0
	s_and_saveexec_b64 s[18:19], vcc
	s_cbranch_execz .LBB2_270
; %bb.265:                              ;   in Loop: Header=BB2_108 Depth=3
	v_cmp_ne_u16_e32 vcc, s36, v0
	v_bfrev_b32_e32 v21, 1
	s_and_saveexec_b64 s[72:73], vcc
	s_cbranch_execz .LBB2_269
; %bb.266:                              ;   in Loop: Header=BB2_108 Depth=3
	v_and_b32_e32 v6, 0x7f, v0
	v_cmp_ne_u32_e32 vcc, s37, v6
	v_mov_b32_e32 v21, 0x7f800001
	s_and_saveexec_b64 s[74:75], vcc
	s_cbranch_execz .LBB2_268
; %bb.267:                              ;   in Loop: Header=BB2_108 Depth=3
	v_and_b32_e32 v21, 7, v0
	v_lshrrev_b32_e32 v35, 3, v6
	v_cmp_gt_u32_e32 vcc, 8, v6
	v_ffbh_u32_e32 v6, v21
	v_min_u32_e32 v6, 32, v6
	v_subrev_u32_e32 v28, 28, v6
	v_lshlrev_b64 v[28:29], v28, v[0:1]
	v_sub_u32_e32 v0, 29, v6
	v_and_b32_e32 v6, 7, v28
	v_cndmask_b32_e32 v0, v35, v0, vcc
	v_cndmask_b32_e32 v6, v21, v6, vcc
	v_lshlrev_b32_e32 v21, 16, v22
	v_lshlrev_b32_e32 v6, 20, v6
	v_and_b32_e32 v21, 0x80000000, v21
	v_lshl_add_u32 v0, v0, 23, v27
	v_or3_b32 v21, v21, v0, v6
.LBB2_268:                              ;   in Loop: Header=BB2_108 Depth=3
	s_or_b64 exec, exec, s[74:75]
.LBB2_269:                              ;   in Loop: Header=BB2_108 Depth=3
	s_or_b64 exec, exec, s[72:73]
.LBB2_270:                              ;   in Loop: Header=BB2_108 Depth=3
	s_or_b64 exec, exec, s[18:19]
	v_lshrrev_b16_e32 v0, 8, v42
	v_cmp_ne_u16_e32 vcc, 0, v0
	s_and_saveexec_b64 s[18:19], vcc
	s_cbranch_execz .LBB2_276
; %bb.271:                              ;   in Loop: Header=BB2_108 Depth=3
	v_cmp_ne_u16_e32 vcc, s36, v0
	v_bfrev_b32_e32 v20, 1
	s_and_saveexec_b64 s[72:73], vcc
	s_cbranch_execz .LBB2_275
; %bb.272:                              ;   in Loop: Header=BB2_108 Depth=3
	v_and_b32_e32 v6, 0x7f, v0
	v_cmp_ne_u32_e32 vcc, s37, v6
	v_mov_b32_e32 v20, 0x7f800001
	s_and_saveexec_b64 s[74:75], vcc
	s_cbranch_execz .LBB2_274
; %bb.273:                              ;   in Loop: Header=BB2_108 Depth=3
	v_and_b32_e32 v20, 7, v0
	v_lshrrev_b32_e32 v35, 3, v6
	v_cmp_gt_u32_e32 vcc, 8, v6
	v_ffbh_u32_e32 v6, v20
	v_min_u32_e32 v6, 32, v6
	v_subrev_u32_e32 v28, 28, v6
	v_lshlrev_b64 v[28:29], v28, v[0:1]
	v_sub_u32_e32 v0, 29, v6
	v_and_b32_e32 v6, 7, v28
	v_cndmask_b32_e32 v0, v35, v0, vcc
	v_cndmask_b32_e32 v6, v20, v6, vcc
	v_lshlrev_b32_e32 v20, 16, v42
	v_lshlrev_b32_e32 v6, 20, v6
	v_and_b32_e32 v20, 0x80000000, v20
	v_lshl_add_u32 v0, v0, 23, v27
	v_or3_b32 v20, v20, v0, v6
.LBB2_274:                              ;   in Loop: Header=BB2_108 Depth=3
	s_or_b64 exec, exec, s[74:75]
.LBB2_275:                              ;   in Loop: Header=BB2_108 Depth=3
	s_or_b64 exec, exec, s[72:73]
.LBB2_276:                              ;   in Loop: Header=BB2_108 Depth=3
	s_or_b64 exec, exec, s[18:19]
	v_mul_f32_e32 v20, v21, v20
	v_and_b32_e32 v28, 0x7f800000, v20
	v_mov_b32_e32 v29, v43
	v_cmp_ne_u64_e32 vcc, s[46:47], v[28:29]
                                        ; implicit-def: $vgpr35
	s_and_saveexec_b64 s[18:19], vcc
	s_xor_b64 s[72:73], exec, s[18:19]
	s_cbranch_execz .LBB2_290
; %bb.277:                              ;   in Loop: Header=BB2_108 Depth=3
	v_and_b32_e32 v28, 0x7fffffff, v20
	v_mov_b32_e32 v29, v43
	v_cmp_gt_u64_e32 vcc, s[56:57], v[28:29]
	v_and_b32_sdwa v0, v20, s36 dst_sel:DWORD dst_unused:UNUSED_PAD src0_sel:BYTE_3 src1_sel:DWORD
                                        ; implicit-def: $vgpr35
	s_and_saveexec_b64 s[18:19], vcc
	s_xor_b64 s[74:75], exec, s[18:19]
	s_cbranch_execz .LBB2_287
; %bb.278:                              ;   in Loop: Header=BB2_108 Depth=3
	v_mov_b32_e32 v35, 0
	v_cmp_ne_u32_e32 vcc, 0, v20
	s_and_saveexec_b64 s[76:77], vcc
	s_cbranch_execz .LBB2_286
; %bb.279:                              ;   in Loop: Header=BB2_108 Depth=3
	v_bfe_u32 v35, v20, 23, 8
	v_cmp_gt_u32_e64 s[18:19], s38, v35
	v_sub_u32_e32 v6, 0x79, v35
	v_cmp_eq_u32_e32 vcc, 0, v35
	v_cndmask_b32_e64 v6, 0, v6, s[18:19]
	v_cndmask_b32_e32 v6, v6, v5, vcc
	v_and_b32_e32 v21, 0x7fffff, v20
	v_add_u32_e32 v28, 20, v6
	v_or_b32_e32 v20, 0x800000, v21
	v_lshlrev_b64 v[28:29], v28, -1
	v_cndmask_b32_e32 v20, v20, v21, vcc
	v_mov_b32_e32 v21, v43
	v_add_u32_e32 v46, 19, v6
	v_bfi_b32 v28, v28, 0, v20
	v_lshlrev_b64 v[46:47], v46, 1
	v_lshrrev_b64 v[20:21], v6, v[20:21]
	v_bfi_b32 v29, v29, 0, 0
	v_cmp_eq_u64_e64 s[18:19], v[28:29], v[46:47]
	v_mov_b32_e32 v29, v21
	v_mov_b32_e32 v28, v20
	s_and_saveexec_b64 s[78:79], s[18:19]
; %bb.280:                              ;   in Loop: Header=BB2_108 Depth=3
	v_bfe_u32 v21, v20, 20, 1
	v_add_co_u32_e64 v21, s[18:19], v20, v21
	v_add_co_u32_e64 v28, s[18:19], -1, v21
; %bb.281:                              ;   in Loop: Header=BB2_108 Depth=3
	s_or_b64 exec, exec, s[78:79]
	v_add_u32_e32 v21, 0xffffff81, v35
	v_cndmask_b32_e32 v21, v21, v8, vcc
	v_lshrrev_b32_e32 v29, 23, v20
	v_add3_u32 v29, v6, v21, v29
	v_add_u32_e32 v6, 6, v29
	v_and_b32_e32 v21, 0xfffff, v28
	v_add_u32_e32 v20, v21, v20
	v_mov_b32_e32 v21, v43
	v_cmp_ne_u32_e32 vcc, 0, v6
                                        ; implicit-def: $vgpr28
	s_and_saveexec_b64 s[18:19], vcc
	s_xor_b64 s[18:19], exec, s[18:19]
; %bb.282:                              ;   in Loop: Header=BB2_108 Depth=3
	v_cmp_lt_u64_e32 vcc, s[58:59], v[20:21]
	v_add_u32_e32 v28, 7, v29
	v_cndmask_b32_e32 v28, v6, v28, vcc
	v_cndmask_b32_e64 v6, 0, 1, vcc
	v_lshrrev_b64 v[20:21], v6, v[20:21]
; %bb.283:                              ;   in Loop: Header=BB2_108 Depth=3
	s_andn2_saveexec_b64 s[18:19], s[18:19]
; %bb.284:                              ;   in Loop: Header=BB2_108 Depth=3
	v_bfe_u32 v28, v20, 23, 1
; %bb.285:                              ;   in Loop: Header=BB2_108 Depth=3
	s_or_b64 exec, exec, s[18:19]
	v_lshrrev_b64 v[20:21], 20, v[20:21]
	v_cmp_gt_i32_e32 vcc, 16, v28
	v_cndmask_b32_e32 v21, 0, v21, vcc
	v_cndmask_b32_e32 v20, 7, v20, vcc
	v_min_i32_e32 v6, 15, v28
	v_cmp_eq_u64_e64 s[18:19], 0, v[20:21]
	v_lshlrev_b32_e32 v6, 3, v6
	v_cmp_eq_u32_e32 vcc, 0, v28
	v_and_b32_e32 v6, 0xf8, v6
	v_and_or_b32 v6, v20, 7, v6
	s_and_b64 s[18:19], vcc, s[18:19]
	v_cndmask_b32_e64 v6, v6, 0, s[18:19]
	v_or_b32_e32 v35, v6, v0
.LBB2_286:                              ;   in Loop: Header=BB2_108 Depth=3
	s_or_b64 exec, exec, s[76:77]
                                        ; implicit-def: $vgpr0
.LBB2_287:                              ;   in Loop: Header=BB2_108 Depth=3
	s_andn2_saveexec_b64 s[18:19], s[74:75]
; %bb.288:                              ;   in Loop: Header=BB2_108 Depth=3
	v_or_b32_e32 v35, 0x7e, v0
; %bb.289:                              ;   in Loop: Header=BB2_108 Depth=3
	s_or_b64 exec, exec, s[18:19]
                                        ; implicit-def: $vgpr20
.LBB2_290:                              ;   in Loop: Header=BB2_108 Depth=3
	s_andn2_saveexec_b64 s[18:19], s[72:73]
; %bb.291:                              ;   in Loop: Header=BB2_108 Depth=3
	v_or_b32_sdwa v35, v20, s37 dst_sel:DWORD dst_unused:UNUSED_PAD src0_sel:BYTE_3 src1_sel:DWORD
; %bb.292:                              ;   in Loop: Header=BB2_108 Depth=3
	s_or_b64 exec, exec, s[18:19]
	v_lshrrev_b32_e32 v0, 16, v22
	v_cmp_ne_u16_sdwa s[72:73], v0, v43 src0_sel:BYTE_0 src1_sel:DWORD
	v_mov_b32_e32 v20, 0
	v_mov_b32_e32 v21, 0
	s_and_saveexec_b64 s[18:19], s[72:73]
	s_cbranch_execz .LBB2_298
; %bb.293:                              ;   in Loop: Header=BB2_108 Depth=3
	v_cmp_ne_u16_sdwa s[74:75], v0, s36 src0_sel:BYTE_0 src1_sel:DWORD
	v_bfrev_b32_e32 v21, 1
	s_and_saveexec_b64 s[72:73], s[74:75]
	s_cbranch_execz .LBB2_297
; %bb.294:                              ;   in Loop: Header=BB2_108 Depth=3
	v_bfe_u32 v6, v22, 16, 7
	v_cmp_ne_u32_e32 vcc, s37, v6
	v_mov_b32_e32 v21, 0x7f800001
	s_and_saveexec_b64 s[74:75], vcc
	s_cbranch_execz .LBB2_296
; %bb.295:                              ;   in Loop: Header=BB2_108 Depth=3
	v_and_b32_e32 v21, 7, v0
	v_lshrrev_b32_e32 v46, 3, v6
	v_cmp_gt_u32_e32 vcc, 8, v6
	v_ffbh_u32_e32 v6, v21
	v_min_u32_e32 v6, 32, v6
	v_subrev_u32_e32 v28, 28, v6
	v_lshlrev_b64 v[28:29], v28, v[0:1]
	v_sub_u32_e32 v6, 29, v6
	v_and_b32_e32 v28, 7, v28
	v_cndmask_b32_e32 v6, v46, v6, vcc
	v_cndmask_b32_e32 v21, v21, v28, vcc
	v_lshlrev_b32_e32 v0, 24, v0
	v_lshlrev_b32_e32 v21, 20, v21
	v_and_b32_e32 v0, 0x80000000, v0
	v_lshl_add_u32 v6, v6, 23, v27
	v_or3_b32 v21, v0, v6, v21
.LBB2_296:                              ;   in Loop: Header=BB2_108 Depth=3
	s_or_b64 exec, exec, s[74:75]
.LBB2_297:                              ;   in Loop: Header=BB2_108 Depth=3
	s_or_b64 exec, exec, s[72:73]
.LBB2_298:                              ;   in Loop: Header=BB2_108 Depth=3
	s_or_b64 exec, exec, s[18:19]
	v_and_b32_sdwa v6, v42, s35 dst_sel:DWORD dst_unused:UNUSED_PAD src0_sel:WORD_1 src1_sel:DWORD
	v_lshrrev_b32_e32 v0, 16, v42
	v_cmp_ne_u16_e32 vcc, 0, v6
	s_and_saveexec_b64 s[18:19], vcc
	s_cbranch_execz .LBB2_304
; %bb.299:                              ;   in Loop: Header=BB2_108 Depth=3
	v_cmp_ne_u16_e32 vcc, s36, v6
	v_bfrev_b32_e32 v20, 1
	s_and_saveexec_b64 s[72:73], vcc
	s_cbranch_execz .LBB2_303
; %bb.300:                              ;   in Loop: Header=BB2_108 Depth=3
	v_bfe_u32 v6, v42, 16, 7
	v_cmp_ne_u32_e32 vcc, s37, v6
	v_mov_b32_e32 v20, 0x7f800001
	s_and_saveexec_b64 s[74:75], vcc
	s_cbranch_execz .LBB2_302
; %bb.301:                              ;   in Loop: Header=BB2_108 Depth=3
	v_and_b32_e32 v20, 7, v0
	v_lshrrev_b32_e32 v46, 3, v6
	v_cmp_gt_u32_e32 vcc, 8, v6
	v_ffbh_u32_e32 v6, v20
	v_min_u32_e32 v6, 32, v6
	v_subrev_u32_e32 v28, 28, v6
	v_lshlrev_b64 v[28:29], v28, v[0:1]
	v_sub_u32_e32 v0, 29, v6
	v_and_b32_e32 v6, 7, v28
	v_cndmask_b32_e32 v0, v46, v0, vcc
	v_cndmask_b32_e32 v6, v20, v6, vcc
	v_lshlrev_b32_e32 v20, 8, v42
	v_lshlrev_b32_e32 v6, 20, v6
	v_and_b32_e32 v20, 0x80000000, v20
	v_lshl_add_u32 v0, v0, 23, v27
	v_or3_b32 v20, v20, v0, v6
.LBB2_302:                              ;   in Loop: Header=BB2_108 Depth=3
	s_or_b64 exec, exec, s[74:75]
.LBB2_303:                              ;   in Loop: Header=BB2_108 Depth=3
	s_or_b64 exec, exec, s[72:73]
.LBB2_304:                              ;   in Loop: Header=BB2_108 Depth=3
	s_or_b64 exec, exec, s[18:19]
	v_mul_f32_e32 v20, v21, v20
	v_and_b32_e32 v28, 0x7f800000, v20
	v_mov_b32_e32 v29, v43
	v_cmp_ne_u64_e32 vcc, s[46:47], v[28:29]
                                        ; implicit-def: $vgpr28
	s_and_saveexec_b64 s[18:19], vcc
	s_xor_b64 s[72:73], exec, s[18:19]
	s_cbranch_execz .LBB2_318
; %bb.305:                              ;   in Loop: Header=BB2_108 Depth=3
	v_and_b32_e32 v28, 0x7fffffff, v20
	v_mov_b32_e32 v29, v43
	v_cmp_gt_u64_e32 vcc, s[56:57], v[28:29]
	v_and_b32_sdwa v0, v20, s36 dst_sel:DWORD dst_unused:UNUSED_PAD src0_sel:BYTE_3 src1_sel:DWORD
                                        ; implicit-def: $vgpr28
	s_and_saveexec_b64 s[18:19], vcc
	s_xor_b64 s[74:75], exec, s[18:19]
	s_cbranch_execz .LBB2_315
; %bb.306:                              ;   in Loop: Header=BB2_108 Depth=3
	v_mov_b32_e32 v28, 0
	v_cmp_ne_u32_e32 vcc, 0, v20
	s_and_saveexec_b64 s[76:77], vcc
	s_cbranch_execz .LBB2_314
; %bb.307:                              ;   in Loop: Header=BB2_108 Depth=3
	v_bfe_u32 v46, v20, 23, 8
	v_cmp_gt_u32_e64 s[18:19], s38, v46
	v_sub_u32_e32 v6, 0x79, v46
	v_cmp_eq_u32_e32 vcc, 0, v46
	v_cndmask_b32_e64 v6, 0, v6, s[18:19]
	v_cndmask_b32_e32 v6, v6, v5, vcc
	v_and_b32_e32 v21, 0x7fffff, v20
	v_add_u32_e32 v28, 20, v6
	v_or_b32_e32 v20, 0x800000, v21
	v_lshlrev_b64 v[28:29], v28, -1
	v_cndmask_b32_e32 v20, v20, v21, vcc
	v_mov_b32_e32 v21, v43
	v_add_u32_e32 v47, 19, v6
	v_bfi_b32 v28, v28, 0, v20
	v_lshlrev_b64 v[58:59], v47, 1
	v_lshrrev_b64 v[20:21], v6, v[20:21]
	v_bfi_b32 v29, v29, 0, 0
	v_cmp_eq_u64_e64 s[18:19], v[28:29], v[58:59]
	v_mov_b32_e32 v29, v21
	v_mov_b32_e32 v28, v20
	s_and_saveexec_b64 s[78:79], s[18:19]
; %bb.308:                              ;   in Loop: Header=BB2_108 Depth=3
	v_bfe_u32 v21, v20, 20, 1
	v_add_co_u32_e64 v21, s[18:19], v20, v21
	v_add_co_u32_e64 v28, s[18:19], -1, v21
; %bb.309:                              ;   in Loop: Header=BB2_108 Depth=3
	s_or_b64 exec, exec, s[78:79]
	v_add_u32_e32 v21, 0xffffff81, v46
	v_cndmask_b32_e32 v21, v21, v8, vcc
	v_lshrrev_b32_e32 v29, 23, v20
	v_add3_u32 v29, v6, v21, v29
	v_add_u32_e32 v6, 6, v29
	v_and_b32_e32 v21, 0xfffff, v28
	v_add_u32_e32 v20, v21, v20
	v_mov_b32_e32 v21, v43
	v_cmp_ne_u32_e32 vcc, 0, v6
                                        ; implicit-def: $vgpr28
	s_and_saveexec_b64 s[18:19], vcc
	s_xor_b64 s[18:19], exec, s[18:19]
; %bb.310:                              ;   in Loop: Header=BB2_108 Depth=3
	v_cmp_lt_u64_e32 vcc, s[58:59], v[20:21]
	v_add_u32_e32 v28, 7, v29
	v_cndmask_b32_e32 v28, v6, v28, vcc
	v_cndmask_b32_e64 v6, 0, 1, vcc
	v_lshrrev_b64 v[20:21], v6, v[20:21]
; %bb.311:                              ;   in Loop: Header=BB2_108 Depth=3
	s_andn2_saveexec_b64 s[18:19], s[18:19]
; %bb.312:                              ;   in Loop: Header=BB2_108 Depth=3
	v_bfe_u32 v28, v20, 23, 1
; %bb.313:                              ;   in Loop: Header=BB2_108 Depth=3
	s_or_b64 exec, exec, s[18:19]
	v_lshrrev_b64 v[20:21], 20, v[20:21]
	v_cmp_gt_i32_e32 vcc, 16, v28
	v_cndmask_b32_e32 v21, 0, v21, vcc
	v_cndmask_b32_e32 v20, 7, v20, vcc
	v_min_i32_e32 v6, 15, v28
	v_cmp_eq_u64_e64 s[18:19], 0, v[20:21]
	v_lshlrev_b32_e32 v6, 3, v6
	v_cmp_eq_u32_e32 vcc, 0, v28
	v_and_b32_e32 v6, 0xf8, v6
	v_and_or_b32 v6, v20, 7, v6
	s_and_b64 s[18:19], vcc, s[18:19]
	v_cndmask_b32_e64 v6, v6, 0, s[18:19]
	v_or_b32_e32 v28, v6, v0
.LBB2_314:                              ;   in Loop: Header=BB2_108 Depth=3
	s_or_b64 exec, exec, s[76:77]
                                        ; implicit-def: $vgpr0
.LBB2_315:                              ;   in Loop: Header=BB2_108 Depth=3
	s_andn2_saveexec_b64 s[18:19], s[74:75]
; %bb.316:                              ;   in Loop: Header=BB2_108 Depth=3
	v_or_b32_e32 v28, 0x7e, v0
; %bb.317:                              ;   in Loop: Header=BB2_108 Depth=3
	s_or_b64 exec, exec, s[18:19]
                                        ; implicit-def: $vgpr20
.LBB2_318:                              ;   in Loop: Header=BB2_108 Depth=3
	s_andn2_saveexec_b64 s[18:19], s[72:73]
; %bb.319:                              ;   in Loop: Header=BB2_108 Depth=3
	v_or_b32_sdwa v28, v20, s37 dst_sel:DWORD dst_unused:UNUSED_PAD src0_sel:BYTE_3 src1_sel:DWORD
; %bb.320:                              ;   in Loop: Header=BB2_108 Depth=3
	s_or_b64 exec, exec, s[18:19]
	v_and_b32_e32 v20, 0xff000000, v22
	v_mov_b32_e32 v21, v43
	v_cmp_ne_u64_e32 vcc, 0, v[20:21]
	v_mov_b32_e32 v20, 0
	v_mov_b32_e32 v21, 0
	s_and_saveexec_b64 s[18:19], vcc
	s_cbranch_execz .LBB2_326
; %bb.321:                              ;   in Loop: Header=BB2_108 Depth=3
	v_lshrrev_b32_e32 v0, 24, v22
	v_cmp_ne_u32_e32 vcc, s36, v0
	v_bfrev_b32_e32 v21, 1
	s_and_saveexec_b64 s[72:73], vcc
	s_cbranch_execz .LBB2_325
; %bb.322:                              ;   in Loop: Header=BB2_108 Depth=3
	v_bfe_u32 v6, v22, 24, 7
	v_cmp_ne_u32_e32 vcc, s37, v6
	v_mov_b32_e32 v21, 0x7f800001
	s_and_saveexec_b64 s[74:75], vcc
	s_cbranch_execz .LBB2_324
; %bb.323:                              ;   in Loop: Header=BB2_108 Depth=3
	v_and_b32_e32 v29, 7, v0
	v_lshrrev_b32_e32 v46, 3, v6
	v_cmp_gt_u32_e32 vcc, 8, v6
	v_ffbh_u32_e32 v6, v29
	v_min_u32_e32 v6, 32, v6
	v_subrev_u32_e32 v21, 28, v6
	v_lshlrev_b64 v[21:22], v21, v[0:1]
	v_sub_u32_e32 v6, 29, v6
	v_and_b32_e32 v21, 7, v21
	v_cndmask_b32_e32 v6, v46, v6, vcc
	v_cndmask_b32_e32 v21, v29, v21, vcc
	v_lshlrev_b32_e32 v0, 24, v0
	v_lshlrev_b32_e32 v21, 20, v21
	v_and_b32_e32 v0, 0x80000000, v0
	v_lshl_add_u32 v6, v6, 23, v27
	v_or3_b32 v21, v0, v6, v21
.LBB2_324:                              ;   in Loop: Header=BB2_108 Depth=3
	s_or_b64 exec, exec, s[74:75]
.LBB2_325:                              ;   in Loop: Header=BB2_108 Depth=3
	s_or_b64 exec, exec, s[72:73]
.LBB2_326:                              ;   in Loop: Header=BB2_108 Depth=3
	s_or_b64 exec, exec, s[18:19]
	v_cmp_lt_u32_e32 vcc, s39, v42
	s_and_saveexec_b64 s[18:19], vcc
	s_cbranch_execz .LBB2_332
; %bb.327:                              ;   in Loop: Header=BB2_108 Depth=3
	v_lshrrev_b32_e32 v0, 24, v42
	v_cmp_ne_u32_sdwa s[74:75], v42, s36 src0_sel:BYTE_3 src1_sel:DWORD
	v_bfrev_b32_e32 v20, 1
	s_and_saveexec_b64 s[72:73], s[74:75]
	s_cbranch_execz .LBB2_331
; %bb.328:                              ;   in Loop: Header=BB2_108 Depth=3
	v_bfe_u32 v6, v42, 24, 7
	v_cmp_ne_u32_e32 vcc, s37, v6
	v_mov_b32_e32 v20, 0x7f800001
	s_and_saveexec_b64 s[74:75], vcc
	s_cbranch_execz .LBB2_330
; %bb.329:                              ;   in Loop: Header=BB2_108 Depth=3
	v_and_b32_e32 v20, 7, v0
	v_lshrrev_b32_e32 v22, 3, v6
	v_cmp_gt_u32_e32 vcc, 8, v6
	v_ffbh_u32_e32 v6, v20
	v_min_u32_e32 v6, 32, v6
	v_subrev_u32_e32 v29, 28, v6
	v_lshlrev_b64 v[46:47], v29, v[0:1]
	v_sub_u32_e32 v0, 29, v6
	v_and_b32_e32 v6, 7, v46
	v_cndmask_b32_e32 v0, v22, v0, vcc
	v_cndmask_b32_e32 v6, v20, v6, vcc
	v_lshlrev_b32_sdwa v20, v9, v42 dst_sel:DWORD dst_unused:UNUSED_PAD src0_sel:DWORD src1_sel:BYTE_3
	v_lshlrev_b32_e32 v6, 20, v6
	v_and_b32_e32 v20, 0x80000000, v20
	v_lshl_add_u32 v0, v0, 23, v27
	v_or3_b32 v20, v20, v0, v6
.LBB2_330:                              ;   in Loop: Header=BB2_108 Depth=3
	s_or_b64 exec, exec, s[74:75]
.LBB2_331:                              ;   in Loop: Header=BB2_108 Depth=3
	s_or_b64 exec, exec, s[72:73]
.LBB2_332:                              ;   in Loop: Header=BB2_108 Depth=3
	s_or_b64 exec, exec, s[18:19]
	v_mul_f32_e32 v21, v21, v20
	v_and_b32_e32 v42, 0x7f800000, v21
	v_cmp_ne_u64_e32 vcc, s[46:47], v[42:43]
                                        ; implicit-def: $vgpr20
	s_and_saveexec_b64 s[18:19], vcc
	s_xor_b64 s[72:73], exec, s[18:19]
	s_cbranch_execz .LBB2_346
; %bb.333:                              ;   in Loop: Header=BB2_108 Depth=3
	v_and_b32_e32 v42, 0x7fffffff, v21
	v_cmp_gt_u64_e32 vcc, s[56:57], v[42:43]
	v_and_b32_sdwa v0, v21, s36 dst_sel:DWORD dst_unused:UNUSED_PAD src0_sel:BYTE_3 src1_sel:DWORD
                                        ; implicit-def: $vgpr20
	s_and_saveexec_b64 s[18:19], vcc
	s_xor_b64 s[74:75], exec, s[18:19]
	s_cbranch_execz .LBB2_343
; %bb.334:                              ;   in Loop: Header=BB2_108 Depth=3
	v_mov_b32_e32 v20, 0
	v_cmp_ne_u32_e32 vcc, 0, v21
	s_and_saveexec_b64 s[76:77], vcc
	s_cbranch_execz .LBB2_342
; %bb.335:                              ;   in Loop: Header=BB2_108 Depth=3
	v_bfe_u32 v29, v21, 23, 8
	v_cmp_gt_u32_e64 s[18:19], s38, v29
	v_sub_u32_e32 v6, 0x79, v29
	v_and_b32_e32 v20, 0x7fffff, v21
	v_cmp_eq_u32_e32 vcc, 0, v29
	v_cndmask_b32_e64 v6, 0, v6, s[18:19]
	v_or_b32_e32 v21, 0x800000, v20
	v_cndmask_b32_e32 v6, v6, v5, vcc
	v_cndmask_b32_e32 v42, v21, v20, vcc
	v_add_u32_e32 v20, 20, v6
	v_lshlrev_b64 v[20:21], v20, -1
	v_add_u32_e32 v22, 19, v6
	v_lshlrev_b64 v[46:47], v22, 1
	v_bfi_b32 v21, v21, 0, 0
	v_bfi_b32 v20, v20, 0, v42
	v_cmp_eq_u64_e64 s[18:19], v[20:21], v[46:47]
	v_lshrrev_b64 v[20:21], v6, v[42:43]
	v_mov_b32_e32 v22, v21
	v_mov_b32_e32 v21, v20
	s_and_saveexec_b64 s[78:79], s[18:19]
; %bb.336:                              ;   in Loop: Header=BB2_108 Depth=3
	v_bfe_u32 v21, v20, 20, 1
	v_add_co_u32_e64 v21, s[18:19], v20, v21
	v_add_co_u32_e64 v21, s[18:19], -1, v21
; %bb.337:                              ;   in Loop: Header=BB2_108 Depth=3
	s_or_b64 exec, exec, s[78:79]
	v_add_u32_e32 v22, 0xffffff81, v29
	v_cndmask_b32_e32 v22, v22, v8, vcc
	v_lshrrev_b32_e32 v29, 23, v20
	v_add3_u32 v29, v6, v22, v29
	v_add_u32_e32 v6, 6, v29
	v_and_b32_e32 v21, 0xfffff, v21
	v_add_u32_e32 v42, v21, v20
	v_cmp_ne_u32_e32 vcc, 0, v6
                                        ; implicit-def: $vgpr20_vgpr21
                                        ; implicit-def: $vgpr22
	s_and_saveexec_b64 s[18:19], vcc
	s_xor_b64 s[18:19], exec, s[18:19]
; %bb.338:                              ;   in Loop: Header=BB2_108 Depth=3
	v_cmp_lt_u64_e32 vcc, s[58:59], v[42:43]
	v_add_u32_e32 v20, 7, v29
	v_cndmask_b32_e32 v22, v6, v20, vcc
	v_cndmask_b32_e64 v6, 0, 1, vcc
	v_lshrrev_b64 v[20:21], v6, v[42:43]
; %bb.339:                              ;   in Loop: Header=BB2_108 Depth=3
	s_andn2_saveexec_b64 s[18:19], s[18:19]
; %bb.340:                              ;   in Loop: Header=BB2_108 Depth=3
	v_mov_b32_e32 v20, v42
	v_bfe_u32 v22, v42, 23, 1
	v_mov_b32_e32 v21, v43
; %bb.341:                              ;   in Loop: Header=BB2_108 Depth=3
	s_or_b64 exec, exec, s[18:19]
	v_lshrrev_b64 v[20:21], 20, v[20:21]
	v_cmp_gt_i32_e32 vcc, 16, v22
	v_cndmask_b32_e32 v21, 0, v21, vcc
	v_cndmask_b32_e32 v20, 7, v20, vcc
	v_min_i32_e32 v6, 15, v22
	v_cmp_eq_u64_e64 s[18:19], 0, v[20:21]
	v_lshlrev_b32_e32 v6, 3, v6
	v_cmp_eq_u32_e32 vcc, 0, v22
	v_and_b32_e32 v6, 0xf8, v6
	v_and_or_b32 v6, v20, 7, v6
	s_and_b64 s[18:19], vcc, s[18:19]
	v_cndmask_b32_e64 v6, v6, 0, s[18:19]
	v_or_b32_e32 v20, v6, v0
.LBB2_342:                              ;   in Loop: Header=BB2_108 Depth=3
	s_or_b64 exec, exec, s[76:77]
                                        ; implicit-def: $vgpr0
.LBB2_343:                              ;   in Loop: Header=BB2_108 Depth=3
	s_andn2_saveexec_b64 s[18:19], s[74:75]
; %bb.344:                              ;   in Loop: Header=BB2_108 Depth=3
	v_or_b32_e32 v20, 0x7e, v0
; %bb.345:                              ;   in Loop: Header=BB2_108 Depth=3
	s_or_b64 exec, exec, s[18:19]
                                        ; implicit-def: $vgpr21
.LBB2_346:                              ;   in Loop: Header=BB2_108 Depth=3
	s_andn2_saveexec_b64 s[18:19], s[72:73]
	s_cbranch_execz .LBB2_107
; %bb.347:                              ;   in Loop: Header=BB2_108 Depth=3
	v_or_b32_sdwa v20, v21, s37 dst_sel:DWORD dst_unused:UNUSED_PAD src0_sel:BYTE_3 src1_sel:DWORD
	s_branch .LBB2_107
.LBB2_348:                              ;   in Loop: Header=BB2_70 Depth=2
	s_or_b64 exec, exec, s[60:61]
	s_and_saveexec_b64 s[18:19], s[10:11]
	s_cbranch_execz .LBB2_361
.LBB2_349:                              ;   in Loop: Header=BB2_70 Depth=2
	s_and_saveexec_b64 s[60:61], s[40:41]
	s_xor_b64 s[60:61], exec, s[60:61]
	s_cbranch_execz .LBB2_370
; %bb.350:                              ;   in Loop: Header=BB2_70 Depth=2
	s_and_saveexec_b64 s[62:63], s[12:13]
	s_cbranch_execz .LBB2_369
; %bb.351:                              ;   in Loop: Header=BB2_70 Depth=2
	s_mov_b64 s[74:75], exec
	s_waitcnt vmcnt(0) lgkmcnt(0)
	v_mbcnt_lo_u32_b32 v0, s74, 0
	v_mbcnt_hi_u32_b32 v0, s75, v0
	v_cmp_eq_u32_e32 vcc, 0, v0
	buffer_wbinvl1_vol
	s_and_saveexec_b64 s[72:73], vcc
	s_cbranch_execz .LBB2_353
; %bb.352:                              ;   in Loop: Header=BB2_70 Depth=2
	s_bcnt1_i32_b64 s26, s[74:75]
	v_mov_b32_e32 v42, s26
	ds_add_u64 v0, v[42:43]
	s_trap 2
.LBB2_353:                              ;   in Loop: Header=BB2_70 Depth=2
	s_or_b64 exec, exec, s[72:73]
	s_trap 2
	ds_read_b64 v[6:7], v0
	s_waitcnt lgkmcnt(0)
	buffer_load_dword v0, off, s[0:3], s32 offset:96 ; 4-byte Folded Reload
	s_waitcnt vmcnt(0)
	v_add_co_u32_e32 v2, vcc, v2, v0
	v_addc_co_u32_e32 v3, vcc, 0, v3, vcc
	v_cmp_lt_u64_e32 vcc, v[6:7], v[2:3]
	s_and_saveexec_b64 s[72:73], vcc
	s_cbranch_execz .LBB2_368
; %bb.354:                              ;   in Loop: Header=BB2_70 Depth=2
	s_mov_b32 s26, 0
	s_mov_b64 s[74:75], 0
                                        ; implicit-def: $sgpr76_sgpr77
                                        ; implicit-def: $sgpr78_sgpr79
	s_branch .LBB2_356
.LBB2_355:                              ;   in Loop: Header=BB2_356 Depth=3
	s_or_b64 exec, exec, s[90:91]
	s_and_b64 s[88:89], exec, s[92:93]
	s_or_b64 s[74:75], s[88:89], s[74:75]
	s_andn2_b64 s[76:77], s[76:77], exec
	s_and_b64 s[88:89], s[78:79], exec
	s_or_b64 s[76:77], s[76:77], s[88:89]
	s_andn2_b64 exec, exec, s[74:75]
	s_cbranch_execz .LBB2_366
.LBB2_356:                              ;   Parent Loop BB2_21 Depth=1
                                        ;     Parent Loop BB2_70 Depth=2
                                        ; =>    This Inner Loop Header: Depth=3
	s_add_i32 s26, s26, 1
	s_cmpk_lg_i32 s26, 0x2710
	s_cselect_b64 s[88:89], -1, 0
	s_and_b64 vcc, exec, s[88:89]
	s_cbranch_vccz .LBB2_358
; %bb.357:                              ;   in Loop: Header=BB2_356 Depth=3
	s_mov_b64 s[92:93], -1
	s_or_b64 s[78:79], s[78:79], exec
	s_and_saveexec_b64 s[90:91], s[88:89]
	s_cbranch_execz .LBB2_355
	s_branch .LBB2_359
.LBB2_358:                              ;   in Loop: Header=BB2_356 Depth=3
	s_trap 2
	ds_read_b64 v[6:7], v0
	s_andn2_b64 s[88:89], s[88:89], exec
	s_mov_b32 s26, 0
	s_waitcnt lgkmcnt(0)
	flat_load_dword v0, v[6:7] glc
	s_waitcnt vmcnt(0) lgkmcnt(0)
	buffer_wbinvl1_vol
	v_cmp_eq_u32_e32 vcc, 0, v0
	s_and_b64 s[90:91], vcc, exec
	s_or_b64 s[88:89], s[88:89], s[90:91]
	s_mov_b64 s[92:93], -1
	s_or_b64 s[78:79], s[78:79], exec
	s_and_saveexec_b64 s[90:91], s[88:89]
	s_cbranch_execz .LBB2_355
.LBB2_359:                              ;   in Loop: Header=BB2_356 Depth=3
	s_sleep 1
	s_trap 2
	ds_read_b64 v[6:7], v0
	s_waitcnt lgkmcnt(0)
	s_andn2_b64 s[78:79], s[78:79], exec
	v_cmp_ge_u64_e32 vcc, v[6:7], v[2:3]
	s_orn2_b64 s[92:93], vcc, exec
	s_branch .LBB2_355
.LBB2_360:                              ;   in Loop: Header=BB2_70 Depth=2
	s_or_b64 exec, exec, s[62:63]
	s_or_b64 exec, exec, s[60:61]
	s_and_saveexec_b64 s[18:19], s[10:11]
	s_cbranch_execnz .LBB2_349
.LBB2_361:                              ;   in Loop: Header=BB2_70 Depth=2
	s_or_b64 exec, exec, s[18:19]
	s_and_saveexec_b64 s[18:19], s[14:15]
	s_cbranch_execz .LBB2_363
.LBB2_362:                              ;   in Loop: Header=BB2_70 Depth=2
	buffer_load_dword v6, off, s[0:3], s32 offset:68 ; 4-byte Folded Reload
	buffer_load_dword v7, off, s[0:3], s32 offset:72 ; 4-byte Folded Reload
	v_add_co_u32_e32 v48, vcc, 1, v48
	v_addc_co_u32_e32 v49, vcc, 0, v49, vcc
	s_waitcnt vmcnt(0)
	flat_store_dwordx2 v[6:7], v[48:49]
.LBB2_363:                              ;   in Loop: Header=BB2_70 Depth=2
	s_or_b64 exec, exec, s[18:19]
	v_and_b32_e32 v42, 0x7ffffff8, v56
	v_cmp_eq_u64_e32 vcc, s[44:45], v[42:43]
	v_cmp_gt_i32_e64 s[18:19], s34, v60
	s_and_b64 s[18:19], vcc, s[18:19]
	s_and_saveexec_b64 s[60:61], s[18:19]
	s_cbranch_execz .LBB2_69
; %bb.364:                              ;   in Loop: Header=BB2_70 Depth=2
	s_waitcnt vmcnt(0) lgkmcnt(0)
	v_and_b32_e32 v0, 7, v50
	v_mul_lo_u32 v6, s34, v0
	v_ashrrev_i32_e32 v61, 31, v60
	v_lshlrev_b64 v[10:11], 4, v[60:61]
	v_mov_b32_e32 v18, v43
	v_ashrrev_i32_e32 v7, 31, v6
	v_lshlrev_b64 v[6:7], 4, v[6:7]
	s_mov_b64 s[62:63], 0
	v_add_co_u32_e32 v0, vcc, v10, v6
	v_addc_co_u32_e32 v6, vcc, v11, v7, vcc
	v_add_co_u32_e32 v22, vcc, v38, v0
	v_addc_co_u32_e32 v23, vcc, v39, v6, vcc
.LBB2_365:                              ;   Parent Loop BB2_21 Depth=1
                                        ;     Parent Loop BB2_70 Depth=2
                                        ; =>    This Inner Loop Header: Depth=3
	v_mov_b32_e32 v20, v18
	v_mov_b32_e32 v21, v19
	v_add_u32_e32 v60, v60, v1
	global_store_dwordx4 v[22:23], v[18:21], off
	v_add_co_u32_e32 v22, vcc, v22, v44
	v_cmp_le_i32_e64 s[18:19], s34, v60
	s_or_b64 s[62:63], s[18:19], s[62:63]
	v_addc_co_u32_e32 v23, vcc, v23, v45, vcc
	s_andn2_b64 exec, exec, s[62:63]
	s_cbranch_execnz .LBB2_365
	s_branch .LBB2_69
.LBB2_366:                              ;   in Loop: Header=BB2_70 Depth=2
	s_or_b64 exec, exec, s[74:75]
	s_and_saveexec_b64 s[74:75], s[76:77]
	s_xor_b64 s[74:75], exec, s[74:75]
	s_cbranch_execz .LBB2_368
; %bb.367:                              ;   in Loop: Header=BB2_70 Depth=2
	v_mov_b32_e32 v0, 1
	ds_write_b32 v0, v0
	s_trap 2
.LBB2_368:                              ;   in Loop: Header=BB2_70 Depth=2
	s_or_b64 exec, exec, s[72:73]
	;;#ASMSTART
	s_wakeup
	;;#ASMEND
.LBB2_369:                              ;   in Loop: Header=BB2_70 Depth=2
	s_or_b64 exec, exec, s[62:63]
.LBB2_370:                              ;   in Loop: Header=BB2_70 Depth=2
	s_andn2_saveexec_b64 s[60:61], s[60:61]
	s_cbranch_execz .LBB2_372
; %bb.371:                              ;   in Loop: Header=BB2_70 Depth=2
	s_waitcnt vmcnt(0) lgkmcnt(0)
	buffer_wbinvl1_vol
	s_barrier
.LBB2_372:                              ;   in Loop: Header=BB2_70 Depth=2
	s_or_b64 exec, exec, s[60:61]
	s_or_b64 exec, exec, s[18:19]
	s_and_saveexec_b64 s[18:19], s[14:15]
	s_cbranch_execnz .LBB2_362
	s_branch .LBB2_363
.LBB2_373:                              ;   in Loop: Header=BB2_21 Depth=1
	buffer_load_dword v61, off, s[0:3], s32 offset:160 ; 4-byte Folded Reload
	buffer_load_dword v62, off, s[0:3], s32 offset:164 ; 4-byte Folded Reload
	;; [unrolled: 1-line block ×5, first 2 shown]
.LBB2_374:                              ;   in Loop: Header=BB2_21 Depth=1
	v_mov_b32_e32 v22, v56
	v_mov_b32_e32 v23, v57
	buffer_load_dword v29, off, s[0:3], s32 offset:108 ; 4-byte Folded Reload
	buffer_load_dword v30, off, s[0:3], s32 offset:112 ; 4-byte Folded Reload
	s_and_saveexec_b64 s[18:19], s[16:17]
	s_cbranch_execz .LBB2_636
; %bb.375:                              ;   in Loop: Header=BB2_21 Depth=1
	s_waitcnt vmcnt(0) lgkmcnt(0)
	flat_load_dword v0, v[24:25]
	buffer_load_dword v18, off, s[0:3], s32 offset:168 ; 4-byte Folded Reload
	buffer_load_dword v19, off, s[0:3], s32 offset:172 ; 4-byte Folded Reload
	;; [unrolled: 1-line block ×6, first 2 shown]
	v_add_u32_e32 v51, 1, v36
	s_mov_b64 s[60:61], 0
	v_mov_b32_e32 v58, v4
	s_waitcnt vmcnt(0) lgkmcnt(0)
	v_ashrrev_i32_e32 v10, 31, v0
	v_mov_b32_e32 v6, v20
	v_mov_b32_e32 v7, v21
	v_add_co_u32_e32 v6, vcc, v6, v29
	v_addc_co_u32_e32 v7, vcc, v7, v30, vcc
	v_mul_lo_u32 v11, v11, v0
	v_mul_lo_u32 v10, v12, v10
	v_mad_u64_u32 v[6:7], s[16:17], v12, v0, v[6:7]
	v_add3_u32 v0, v11, v7, v10
	v_lshlrev_b32_e32 v7, 3, v4
	v_add_co_u32_e32 v12, vcc, v6, v7
	buffer_load_dword v6, off, s[0:3], s32 offset:184 ; 4-byte Folded Reload
	s_waitcnt vmcnt(0)
	v_addc_co_u32_e32 v28, vcc, v0, v6, vcc
	buffer_load_dword v0, off, s[0:3], s32 offset:196 ; 4-byte Folded Reload
	s_waitcnt vmcnt(0)
	v_add_co_u32_e32 v56, vcc, v0, v29
	buffer_load_dword v0, off, s[0:3], s32 offset:200 ; 4-byte Folded Reload
	buffer_load_dword v10, off, s[0:3], s32 offset:76 ; 4-byte Folded Reload
	;; [unrolled: 1-line block ×3, first 2 shown]
	s_waitcnt vmcnt(2)
	v_addc_co_u32_e32 v57, vcc, v0, v30, vcc
	v_and_b32_e32 v0, 7, v36
	v_mul_lo_u32 v6, v0, s34
	v_ashrrev_i32_e32 v7, 31, v6
	v_lshlrev_b64 v[6:7], 4, v[6:7]
	s_waitcnt vmcnt(1)
	v_add_co_u32_e32 v29, vcc, v10, v6
	s_waitcnt vmcnt(0)
	v_addc_co_u32_e32 v50, vcc, v11, v7, vcc
	s_branch .LBB2_377
.LBB2_376:                              ;   in Loop: Header=BB2_377 Depth=2
	v_add_co_u32_e32 v12, vcc, v12, v13
	v_addc_co_u32_e32 v28, vcc, 0, v28, vcc
	v_add_co_u32_e32 v56, vcc, v56, v13
	v_addc_co_u32_e32 v57, vcc, 0, v57, vcc
	v_sub_u32_e32 v26, v26, v13
	v_cmp_gt_i32_e32 vcc, 1, v26
	s_or_b64 s[60:61], vcc, s[60:61]
	v_add_u32_e32 v58, v58, v1
	s_andn2_b64 exec, exec, s[60:61]
	s_cbranch_execz .LBB2_635
.LBB2_377:                              ;   Parent Loop BB2_21 Depth=1
                                        ; =>  This Loop Header: Depth=2
                                        ;       Child Loop BB2_385 Depth 3
	v_and_b32_e32 v18, -4, v12
	v_mov_b32_e32 v19, v28
	global_load_dword v0, v[18:19], off glc slc
	v_min_u32_e32 v6, 8, v26
	v_and_b32_e32 v7, 3, v12
	v_add_u32_e32 v42, v7, v6
	v_cmp_lt_u32_e32 vcc, 4, v42
	v_mov_b32_e32 v34, 0
	v_mov_b32_e32 v35, 0
	s_and_saveexec_b64 s[16:17], vcc
	s_cbranch_execz .LBB2_379
; %bb.378:                              ;   in Loop: Header=BB2_377 Depth=2
	global_load_dword v35, v[18:19], off offset:4 glc slc
.LBB2_379:                              ;   in Loop: Header=BB2_377 Depth=2
	s_or_b64 exec, exec, s[16:17]
	v_cmp_lt_u64_e32 vcc, 8, v[42:43]
	s_and_saveexec_b64 s[16:17], vcc
	s_cbranch_execz .LBB2_381
; %bb.380:                              ;   in Loop: Header=BB2_377 Depth=2
	global_load_dword v34, v[18:19], off offset:8 glc slc
.LBB2_381:                              ;   in Loop: Header=BB2_377 Depth=2
	s_or_b64 exec, exec, s[16:17]
	v_ashrrev_i32_e32 v59, 31, v58
	v_lshlrev_b64 v[6:7], 4, v[58:59]
	v_add_co_u32_e32 v32, vcc, v29, v6
	v_addc_co_u32_e32 v33, vcc, v50, v7, vcc
	global_load_dwordx4 v[18:21], v[32:33], off glc slc
	v_cmp_eq_u32_e32 vcc, 0, v40
	s_and_saveexec_b64 s[62:63], vcc
	s_cbranch_execz .LBB2_393
; %bb.382:                              ;   in Loop: Header=BB2_377 Depth=2
	s_waitcnt vmcnt(0)
	v_cmp_ne_u32_e32 vcc, v51, v19
	v_cmp_ne_u32_e64 s[16:17], v51, v21
	s_or_b64 s[16:17], vcc, s[16:17]
	v_mov_b32_e32 v40, 0
	s_and_saveexec_b64 s[72:73], s[16:17]
	s_cbranch_execz .LBB2_392
; %bb.383:                              ;   in Loop: Header=BB2_377 Depth=2
	s_mov_b32 s26, 1
	s_mov_b64 s[76:77], 0
                                        ; implicit-def: $sgpr74_sgpr75
                                        ; implicit-def: $sgpr78_sgpr79
	s_branch .LBB2_385
.LBB2_384:                              ;   in Loop: Header=BB2_385 Depth=3
	s_or_b64 exec, exec, s[90:91]
	s_and_b64 s[16:17], exec, s[16:17]
	s_or_b64 s[76:77], s[16:17], s[76:77]
	s_andn2_b64 s[16:17], s[74:75], exec
	s_and_b64 s[74:75], s[78:79], exec
	s_or_b64 s[74:75], s[16:17], s[74:75]
	s_andn2_b64 exec, exec, s[76:77]
	s_cbranch_execz .LBB2_389
.LBB2_385:                              ;   Parent Loop BB2_21 Depth=1
                                        ;     Parent Loop BB2_377 Depth=2
                                        ; =>    This Inner Loop Header: Depth=3
	global_load_dwordx4 v[18:21], v[32:33], off glc slc
	s_add_i32 s26, s26, 1
	s_mov_b64 s[16:17], -1
	s_cmpk_lg_i32 s26, 0x2710
	s_mov_b64 s[88:89], -1
                                        ; implicit-def: $vgpr7
	s_cbranch_scc0 .LBB2_387
; %bb.386:                              ;   in Loop: Header=BB2_385 Depth=3
	s_or_b64 s[78:79], s[78:79], exec
	s_and_saveexec_b64 s[90:91], s[88:89]
	s_cbranch_execz .LBB2_384
	s_branch .LBB2_388
.LBB2_387:                              ;   in Loop: Header=BB2_385 Depth=3
	s_trap 2
	ds_read_b64 v[6:7], v0
	s_mov_b32 s26, 0
	s_waitcnt vmcnt(0) lgkmcnt(0)
	flat_load_dword v7, v[6:7] glc
	s_waitcnt vmcnt(0) lgkmcnt(0)
	buffer_wbinvl1_vol
	v_cmp_eq_u32_e32 vcc, 0, v7
	s_orn2_b64 s[88:89], vcc, exec
	s_or_b64 s[78:79], s[78:79], exec
	s_and_saveexec_b64 s[90:91], s[88:89]
	s_cbranch_execz .LBB2_384
.LBB2_388:                              ;   in Loop: Header=BB2_385 Depth=3
	s_waitcnt vmcnt(0)
	v_cmp_eq_u32_e32 vcc, v51, v19
	v_cmp_eq_u32_e64 s[16:17], v51, v21
	s_and_b64 s[16:17], vcc, s[16:17]
	s_andn2_b64 s[78:79], s[78:79], exec
	s_orn2_b64 s[16:17], s[16:17], exec
	s_branch .LBB2_384
.LBB2_389:                              ;   in Loop: Header=BB2_377 Depth=2
	s_or_b64 exec, exec, s[76:77]
	v_mov_b32_e32 v40, 0
	s_and_saveexec_b64 s[16:17], s[74:75]
	s_xor_b64 s[16:17], exec, s[16:17]
	s_cbranch_execz .LBB2_391
; %bb.390:                              ;   in Loop: Header=BB2_377 Depth=2
	v_mov_b32_e32 v40, 1
	ds_write_b32 v0, v7
	s_trap 2
.LBB2_391:                              ;   in Loop: Header=BB2_377 Depth=2
	s_or_b64 exec, exec, s[16:17]
.LBB2_392:                              ;   in Loop: Header=BB2_377 Depth=2
	s_or_b64 exec, exec, s[72:73]
.LBB2_393:                              ;   in Loop: Header=BB2_377 Depth=2
	s_or_b64 exec, exec, s[62:63]
	s_waitcnt vmcnt(0)
	v_cmp_ne_u16_sdwa s[62:63], v18, v43 src0_sel:BYTE_0 src1_sel:DWORD
	v_mov_b32_e32 v7, 0
	v_mov_b32_e32 v10, 0
	s_and_saveexec_b64 s[16:17], s[62:63]
	s_cbranch_execz .LBB2_399
; %bb.394:                              ;   in Loop: Header=BB2_377 Depth=2
	v_cmp_ne_u16_sdwa s[72:73], v18, s36 src0_sel:BYTE_0 src1_sel:DWORD
	v_bfrev_b32_e32 v10, 1
	s_and_saveexec_b64 s[62:63], s[72:73]
	s_cbranch_execz .LBB2_398
; %bb.395:                              ;   in Loop: Header=BB2_377 Depth=2
	v_and_b32_e32 v6, 0x7f, v18
	v_cmp_ne_u32_e32 vcc, s37, v6
	v_mov_b32_e32 v10, 0x7f800001
	s_and_saveexec_b64 s[72:73], vcc
	s_cbranch_execz .LBB2_397
; %bb.396:                              ;   in Loop: Header=BB2_377 Depth=2
	v_and_b32_e32 v10, 7, v18
	v_lshrrev_b32_e32 v11, 3, v6
	v_cmp_gt_u32_e32 vcc, 8, v6
	v_ffbh_u32_e32 v6, v10
	v_min_u32_e32 v6, 32, v6
	v_subrev_u32_e32 v10, 28, v6
	v_sub_u32_e32 v6, 29, v6
	v_cndmask_b32_e32 v10, 0, v10, vcc
	v_cndmask_b32_e32 v6, v11, v6, vcc
	v_lshlrev_b64 v[10:11], v10, v[18:19]
	v_lshlrev_b32_e32 v11, 24, v18
	v_lshlrev_b32_e32 v10, 20, v10
	v_and_b32_e32 v10, 0x700000, v10
	v_and_b32_e32 v11, 0x80000000, v11
	v_lshl_add_u32 v6, v6, 23, v27
	v_or3_b32 v10, v11, v6, v10
.LBB2_397:                              ;   in Loop: Header=BB2_377 Depth=2
	s_or_b64 exec, exec, s[72:73]
.LBB2_398:                              ;   in Loop: Header=BB2_377 Depth=2
	s_or_b64 exec, exec, s[62:63]
.LBB2_399:                              ;   in Loop: Header=BB2_377 Depth=2
	s_or_b64 exec, exec, s[16:17]
	v_lshlrev_b32_e32 v33, 3, v12
	v_alignbit_b32 v42, v35, v0, v33
	v_cmp_ne_u16_sdwa s[62:63], v42, v43 src0_sel:BYTE_0 src1_sel:DWORD
	s_and_saveexec_b64 s[16:17], s[62:63]
	s_cbranch_execz .LBB2_405
; %bb.400:                              ;   in Loop: Header=BB2_377 Depth=2
	v_cmp_ne_u16_sdwa s[72:73], v42, s36 src0_sel:BYTE_0 src1_sel:DWORD
	v_bfrev_b32_e32 v7, 1
	s_and_saveexec_b64 s[62:63], s[72:73]
	s_cbranch_execz .LBB2_404
; %bb.401:                              ;   in Loop: Header=BB2_377 Depth=2
	v_and_b32_e32 v0, 0x7f, v42
	v_cmp_ne_u32_e32 vcc, s37, v0
	v_mov_b32_e32 v7, 0x7f800001
	s_and_saveexec_b64 s[72:73], vcc
	s_cbranch_execz .LBB2_403
; %bb.402:                              ;   in Loop: Header=BB2_377 Depth=2
	v_and_b32_e32 v6, 7, v42
	v_lshrrev_b32_e32 v7, 3, v0
	v_cmp_gt_u32_e32 vcc, 8, v0
	v_ffbh_u32_e32 v0, v6
	v_min_u32_e32 v0, 32, v0
	v_subrev_u32_e32 v6, 28, v0
	v_sub_u32_e32 v0, 29, v0
	v_cndmask_b32_e32 v6, 0, v6, vcc
	v_cndmask_b32_e32 v0, v7, v0, vcc
	v_lshlrev_b64 v[6:7], v6, v[42:43]
	v_lshlrev_b32_e32 v7, 24, v42
	v_lshlrev_b32_e32 v6, 20, v6
	v_and_b32_e32 v6, 0x700000, v6
	v_and_b32_e32 v7, 0x80000000, v7
	v_lshl_add_u32 v0, v0, 23, v27
	v_or3_b32 v7, v7, v0, v6
.LBB2_403:                              ;   in Loop: Header=BB2_377 Depth=2
	s_or_b64 exec, exec, s[72:73]
.LBB2_404:                              ;   in Loop: Header=BB2_377 Depth=2
	s_or_b64 exec, exec, s[62:63]
.LBB2_405:                              ;   in Loop: Header=BB2_377 Depth=2
	s_or_b64 exec, exec, s[16:17]
	v_mul_f32_e32 v10, v10, v7
	v_and_b32_e32 v6, 0x7f800000, v10
	v_mov_b32_e32 v7, v43
	v_cmp_ne_u64_e32 vcc, s[46:47], v[6:7]
                                        ; implicit-def: $vgpr7
	s_and_saveexec_b64 s[16:17], vcc
	s_xor_b64 s[62:63], exec, s[16:17]
	s_cbranch_execz .LBB2_419
; %bb.406:                              ;   in Loop: Header=BB2_377 Depth=2
	v_and_b32_e32 v6, 0x7fffffff, v10
	v_mov_b32_e32 v7, v43
	v_cmp_gt_u64_e32 vcc, s[56:57], v[6:7]
	v_and_b32_sdwa v0, v10, s36 dst_sel:DWORD dst_unused:UNUSED_PAD src0_sel:BYTE_3 src1_sel:DWORD
                                        ; implicit-def: $vgpr7
	s_and_saveexec_b64 s[16:17], vcc
	s_xor_b64 s[72:73], exec, s[16:17]
	s_cbranch_execz .LBB2_416
; %bb.407:                              ;   in Loop: Header=BB2_377 Depth=2
	v_mov_b32_e32 v7, 0
	v_cmp_ne_u32_e32 vcc, 0, v10
	s_and_saveexec_b64 s[74:75], vcc
	s_cbranch_execz .LBB2_415
; %bb.408:                              ;   in Loop: Header=BB2_377 Depth=2
	v_bfe_u32 v7, v10, 23, 8
	v_and_b32_e32 v6, 0x7fffff, v10
	v_cmp_gt_u32_e64 s[16:17], s38, v7
	v_sub_u32_e32 v10, 0x79, v7
	v_cmp_eq_u32_e32 vcc, 0, v7
	v_cndmask_b32_e64 v10, 0, v10, s[16:17]
	v_or_b32_e32 v11, 0x800000, v6
	v_cndmask_b32_e32 v10, v10, v5, vcc
	v_cndmask_b32_e32 v30, v11, v6, vcc
	v_add_u32_e32 v6, 20, v10
	v_lshlrev_b64 v[46:47], v6, -1
	v_mov_b32_e32 v31, v43
	v_add_u32_e32 v6, 19, v10
	v_bfi_b32 v46, v46, 0, v30
	v_lshlrev_b64 v[59:60], v6, 1
	v_lshrrev_b64 v[30:31], v10, v[30:31]
	v_bfi_b32 v47, v47, 0, 0
	v_cmp_eq_u64_e64 s[16:17], v[46:47], v[59:60]
	v_mov_b32_e32 v32, v31
	v_mov_b32_e32 v31, v30
	s_and_saveexec_b64 s[76:77], s[16:17]
; %bb.409:                              ;   in Loop: Header=BB2_377 Depth=2
	v_bfe_u32 v6, v30, 20, 1
	v_add_co_u32_e64 v6, s[16:17], v30, v6
	v_add_co_u32_e64 v31, s[16:17], -1, v6
; %bb.410:                              ;   in Loop: Header=BB2_377 Depth=2
	s_or_b64 exec, exec, s[76:77]
	v_add_u32_e32 v6, 0xffffff81, v7
	v_cndmask_b32_e32 v6, v6, v8, vcc
	v_lshrrev_b32_e32 v7, 23, v30
	v_add3_u32 v10, v10, v6, v7
	v_add_u32_e32 v6, 6, v10
	v_and_b32_e32 v7, 0xfffff, v31
	v_add_u32_e32 v30, v7, v30
	v_mov_b32_e32 v31, v43
	v_cmp_ne_u32_e32 vcc, 0, v6
                                        ; implicit-def: $vgpr7
	s_and_saveexec_b64 s[16:17], vcc
	s_xor_b64 s[16:17], exec, s[16:17]
; %bb.411:                              ;   in Loop: Header=BB2_377 Depth=2
	v_cmp_lt_u64_e32 vcc, s[58:59], v[30:31]
	v_add_u32_e32 v7, 7, v10
	v_cndmask_b32_e32 v7, v6, v7, vcc
	v_cndmask_b32_e64 v6, 0, 1, vcc
	v_lshrrev_b64 v[30:31], v6, v[30:31]
; %bb.412:                              ;   in Loop: Header=BB2_377 Depth=2
	s_andn2_saveexec_b64 s[16:17], s[16:17]
; %bb.413:                              ;   in Loop: Header=BB2_377 Depth=2
	v_bfe_u32 v7, v30, 23, 1
; %bb.414:                              ;   in Loop: Header=BB2_377 Depth=2
	s_or_b64 exec, exec, s[16:17]
	v_lshrrev_b64 v[10:11], 20, v[30:31]
	v_cmp_gt_i32_e32 vcc, 16, v7
	v_cndmask_b32_e32 v11, 0, v11, vcc
	v_cndmask_b32_e32 v10, 7, v10, vcc
	v_min_i32_e32 v6, 15, v7
	v_cmp_eq_u64_e64 s[16:17], 0, v[10:11]
	v_lshlrev_b32_e32 v6, 3, v6
	v_cmp_eq_u32_e32 vcc, 0, v7
	v_and_b32_e32 v6, 0xf8, v6
	v_and_or_b32 v6, v10, 7, v6
	s_and_b64 s[16:17], vcc, s[16:17]
	v_cndmask_b32_e64 v6, v6, 0, s[16:17]
	v_or_b32_e32 v7, v6, v0
.LBB2_415:                              ;   in Loop: Header=BB2_377 Depth=2
	s_or_b64 exec, exec, s[74:75]
                                        ; implicit-def: $vgpr0
.LBB2_416:                              ;   in Loop: Header=BB2_377 Depth=2
	s_andn2_saveexec_b64 s[16:17], s[72:73]
; %bb.417:                              ;   in Loop: Header=BB2_377 Depth=2
	v_or_b32_e32 v7, 0x7e, v0
; %bb.418:                              ;   in Loop: Header=BB2_377 Depth=2
	s_or_b64 exec, exec, s[16:17]
                                        ; implicit-def: $vgpr10
.LBB2_419:                              ;   in Loop: Header=BB2_377 Depth=2
	s_andn2_saveexec_b64 s[16:17], s[62:63]
; %bb.420:                              ;   in Loop: Header=BB2_377 Depth=2
	v_or_b32_sdwa v7, v10, s37 dst_sel:DWORD dst_unused:UNUSED_PAD src0_sel:BYTE_3 src1_sel:DWORD
; %bb.421:                              ;   in Loop: Header=BB2_377 Depth=2
	s_or_b64 exec, exec, s[16:17]
	v_lshrrev_b16_e32 v0, 8, v18
	v_cmp_ne_u16_e32 vcc, 0, v0
	v_mov_b32_e32 v10, 0
	v_mov_b32_e32 v11, 0
	s_and_saveexec_b64 s[16:17], vcc
	s_cbranch_execz .LBB2_427
; %bb.422:                              ;   in Loop: Header=BB2_377 Depth=2
	v_cmp_ne_u16_e32 vcc, s36, v0
	v_bfrev_b32_e32 v11, 1
	s_and_saveexec_b64 s[62:63], vcc
	s_cbranch_execz .LBB2_426
; %bb.423:                              ;   in Loop: Header=BB2_377 Depth=2
	v_and_b32_e32 v6, 0x7f, v0
	v_cmp_ne_u32_e32 vcc, s37, v6
	v_mov_b32_e32 v11, 0x7f800001
	s_and_saveexec_b64 s[72:73], vcc
	s_cbranch_execz .LBB2_425
; %bb.424:                              ;   in Loop: Header=BB2_377 Depth=2
	v_and_b32_e32 v11, 7, v0
	v_lshrrev_b32_e32 v19, 3, v6
	v_cmp_gt_u32_e32 vcc, 8, v6
	v_ffbh_u32_e32 v6, v11
	v_min_u32_e32 v6, 32, v6
	v_subrev_u32_e32 v30, 28, v6
	v_lshlrev_b64 v[30:31], v30, v[0:1]
	v_sub_u32_e32 v0, 29, v6
	v_and_b32_e32 v6, 7, v30
	v_cndmask_b32_e32 v0, v19, v0, vcc
	v_cndmask_b32_e32 v6, v11, v6, vcc
	v_lshlrev_b32_e32 v11, 16, v18
	v_lshlrev_b32_e32 v6, 20, v6
	v_and_b32_e32 v11, 0x80000000, v11
	v_lshl_add_u32 v0, v0, 23, v27
	v_or3_b32 v11, v11, v0, v6
.LBB2_425:                              ;   in Loop: Header=BB2_377 Depth=2
	s_or_b64 exec, exec, s[72:73]
.LBB2_426:                              ;   in Loop: Header=BB2_377 Depth=2
	s_or_b64 exec, exec, s[62:63]
.LBB2_427:                              ;   in Loop: Header=BB2_377 Depth=2
	s_or_b64 exec, exec, s[16:17]
	v_lshrrev_b16_e32 v0, 8, v42
	v_cmp_ne_u16_e32 vcc, 0, v0
	s_and_saveexec_b64 s[16:17], vcc
	s_cbranch_execz .LBB2_433
; %bb.428:                              ;   in Loop: Header=BB2_377 Depth=2
	v_cmp_ne_u16_e32 vcc, s36, v0
	v_bfrev_b32_e32 v10, 1
	s_and_saveexec_b64 s[62:63], vcc
	s_cbranch_execz .LBB2_432
; %bb.429:                              ;   in Loop: Header=BB2_377 Depth=2
	v_and_b32_e32 v6, 0x7f, v0
	v_cmp_ne_u32_e32 vcc, s37, v6
	v_mov_b32_e32 v10, 0x7f800001
	s_and_saveexec_b64 s[72:73], vcc
	s_cbranch_execz .LBB2_431
; %bb.430:                              ;   in Loop: Header=BB2_377 Depth=2
	v_and_b32_e32 v10, 7, v0
	v_lshrrev_b32_e32 v19, 3, v6
	v_cmp_gt_u32_e32 vcc, 8, v6
	v_ffbh_u32_e32 v6, v10
	v_min_u32_e32 v6, 32, v6
	v_subrev_u32_e32 v30, 28, v6
	v_lshlrev_b64 v[30:31], v30, v[0:1]
	v_sub_u32_e32 v0, 29, v6
	v_and_b32_e32 v6, 7, v30
	v_cndmask_b32_e32 v0, v19, v0, vcc
	v_cndmask_b32_e32 v6, v10, v6, vcc
	v_lshlrev_b32_e32 v10, 16, v42
	v_lshlrev_b32_e32 v6, 20, v6
	v_and_b32_e32 v10, 0x80000000, v10
	v_lshl_add_u32 v0, v0, 23, v27
	v_or3_b32 v10, v10, v0, v6
.LBB2_431:                              ;   in Loop: Header=BB2_377 Depth=2
	s_or_b64 exec, exec, s[72:73]
.LBB2_432:                              ;   in Loop: Header=BB2_377 Depth=2
	s_or_b64 exec, exec, s[62:63]
.LBB2_433:                              ;   in Loop: Header=BB2_377 Depth=2
	s_or_b64 exec, exec, s[16:17]
	v_mul_f32_e32 v11, v11, v10
	v_and_b32_e32 v30, 0x7f800000, v11
	v_mov_b32_e32 v31, v43
	v_cmp_ne_u64_e32 vcc, s[46:47], v[30:31]
                                        ; implicit-def: $vgpr10
	s_and_saveexec_b64 s[16:17], vcc
	s_xor_b64 s[62:63], exec, s[16:17]
	s_cbranch_execz .LBB2_447
; %bb.434:                              ;   in Loop: Header=BB2_377 Depth=2
	v_and_b32_e32 v30, 0x7fffffff, v11
	v_mov_b32_e32 v31, v43
	v_cmp_gt_u64_e32 vcc, s[56:57], v[30:31]
	v_and_b32_sdwa v0, v11, s36 dst_sel:DWORD dst_unused:UNUSED_PAD src0_sel:BYTE_3 src1_sel:DWORD
                                        ; implicit-def: $vgpr10
	s_and_saveexec_b64 s[16:17], vcc
	s_xor_b64 s[72:73], exec, s[16:17]
	s_cbranch_execz .LBB2_444
; %bb.435:                              ;   in Loop: Header=BB2_377 Depth=2
	v_mov_b32_e32 v10, 0
	v_cmp_ne_u32_e32 vcc, 0, v11
	s_and_saveexec_b64 s[74:75], vcc
	s_cbranch_execz .LBB2_443
; %bb.436:                              ;   in Loop: Header=BB2_377 Depth=2
	v_bfe_u32 v10, v11, 23, 8
	v_and_b32_e32 v6, 0x7fffff, v11
	v_cmp_gt_u32_e64 s[16:17], s38, v10
	v_sub_u32_e32 v11, 0x79, v10
	v_cmp_eq_u32_e32 vcc, 0, v10
	v_cndmask_b32_e64 v11, 0, v11, s[16:17]
	v_or_b32_e32 v19, 0x800000, v6
	v_cndmask_b32_e32 v11, v11, v5, vcc
	v_cndmask_b32_e32 v30, v19, v6, vcc
	v_add_u32_e32 v6, 20, v11
	v_lshlrev_b64 v[46:47], v6, -1
	v_mov_b32_e32 v31, v43
	v_add_u32_e32 v6, 19, v11
	v_bfi_b32 v46, v46, 0, v30
	v_lshlrev_b64 v[59:60], v6, 1
	v_lshrrev_b64 v[30:31], v11, v[30:31]
	v_bfi_b32 v47, v47, 0, 0
	v_cmp_eq_u64_e64 s[16:17], v[46:47], v[59:60]
	v_mov_b32_e32 v32, v31
	v_mov_b32_e32 v31, v30
	s_and_saveexec_b64 s[76:77], s[16:17]
; %bb.437:                              ;   in Loop: Header=BB2_377 Depth=2
	v_bfe_u32 v6, v30, 20, 1
	v_add_co_u32_e64 v6, s[16:17], v30, v6
	v_add_co_u32_e64 v31, s[16:17], -1, v6
; %bb.438:                              ;   in Loop: Header=BB2_377 Depth=2
	s_or_b64 exec, exec, s[76:77]
	v_add_u32_e32 v6, 0xffffff81, v10
	v_cndmask_b32_e32 v6, v6, v8, vcc
	v_lshrrev_b32_e32 v10, 23, v30
	v_add3_u32 v11, v11, v6, v10
	v_add_u32_e32 v6, 6, v11
	v_and_b32_e32 v10, 0xfffff, v31
	v_add_u32_e32 v30, v10, v30
	v_mov_b32_e32 v31, v43
	v_cmp_ne_u32_e32 vcc, 0, v6
                                        ; implicit-def: $vgpr10
	s_and_saveexec_b64 s[16:17], vcc
	s_xor_b64 s[16:17], exec, s[16:17]
; %bb.439:                              ;   in Loop: Header=BB2_377 Depth=2
	v_cmp_lt_u64_e32 vcc, s[58:59], v[30:31]
	v_add_u32_e32 v10, 7, v11
	v_cndmask_b32_e32 v10, v6, v10, vcc
	v_cndmask_b32_e64 v6, 0, 1, vcc
	v_lshrrev_b64 v[30:31], v6, v[30:31]
; %bb.440:                              ;   in Loop: Header=BB2_377 Depth=2
	s_andn2_saveexec_b64 s[16:17], s[16:17]
; %bb.441:                              ;   in Loop: Header=BB2_377 Depth=2
	v_bfe_u32 v10, v30, 23, 1
; %bb.442:                              ;   in Loop: Header=BB2_377 Depth=2
	s_or_b64 exec, exec, s[16:17]
	v_lshrrev_b64 v[30:31], 20, v[30:31]
	v_cmp_gt_i32_e32 vcc, 16, v10
	v_cndmask_b32_e32 v31, 0, v31, vcc
	v_cndmask_b32_e32 v30, 7, v30, vcc
	v_min_i32_e32 v6, 15, v10
	v_cmp_eq_u64_e64 s[16:17], 0, v[30:31]
	v_lshlrev_b32_e32 v6, 3, v6
	v_cmp_eq_u32_e32 vcc, 0, v10
	v_and_b32_e32 v6, 0xf8, v6
	v_and_or_b32 v6, v30, 7, v6
	s_and_b64 s[16:17], vcc, s[16:17]
	v_cndmask_b32_e64 v6, v6, 0, s[16:17]
	v_or_b32_e32 v10, v6, v0
.LBB2_443:                              ;   in Loop: Header=BB2_377 Depth=2
	s_or_b64 exec, exec, s[74:75]
                                        ; implicit-def: $vgpr0
.LBB2_444:                              ;   in Loop: Header=BB2_377 Depth=2
	s_andn2_saveexec_b64 s[16:17], s[72:73]
; %bb.445:                              ;   in Loop: Header=BB2_377 Depth=2
	v_or_b32_e32 v10, 0x7e, v0
; %bb.446:                              ;   in Loop: Header=BB2_377 Depth=2
	s_or_b64 exec, exec, s[16:17]
                                        ; implicit-def: $vgpr11
.LBB2_447:                              ;   in Loop: Header=BB2_377 Depth=2
	s_andn2_saveexec_b64 s[16:17], s[62:63]
; %bb.448:                              ;   in Loop: Header=BB2_377 Depth=2
	v_or_b32_sdwa v10, v11, s37 dst_sel:DWORD dst_unused:UNUSED_PAD src0_sel:BYTE_3 src1_sel:DWORD
; %bb.449:                              ;   in Loop: Header=BB2_377 Depth=2
	s_or_b64 exec, exec, s[16:17]
	v_lshrrev_b32_e32 v0, 16, v18
	v_cmp_ne_u16_sdwa s[62:63], v0, v43 src0_sel:BYTE_0 src1_sel:DWORD
	v_mov_b32_e32 v11, 0
	v_mov_b32_e32 v19, 0
	s_and_saveexec_b64 s[16:17], s[62:63]
	s_cbranch_execz .LBB2_455
; %bb.450:                              ;   in Loop: Header=BB2_377 Depth=2
	v_cmp_ne_u16_sdwa s[72:73], v0, s36 src0_sel:BYTE_0 src1_sel:DWORD
	v_bfrev_b32_e32 v19, 1
	s_and_saveexec_b64 s[62:63], s[72:73]
	s_cbranch_execz .LBB2_454
; %bb.451:                              ;   in Loop: Header=BB2_377 Depth=2
	v_bfe_u32 v6, v18, 16, 7
	v_cmp_ne_u32_e32 vcc, s37, v6
	v_mov_b32_e32 v19, 0x7f800001
	s_and_saveexec_b64 s[72:73], vcc
	s_cbranch_execz .LBB2_453
; %bb.452:                              ;   in Loop: Header=BB2_377 Depth=2
	v_and_b32_e32 v19, 7, v0
	v_lshrrev_b32_e32 v32, 3, v6
	v_cmp_gt_u32_e32 vcc, 8, v6
	v_ffbh_u32_e32 v6, v19
	v_min_u32_e32 v6, 32, v6
	v_subrev_u32_e32 v30, 28, v6
	v_lshlrev_b64 v[30:31], v30, v[0:1]
	v_sub_u32_e32 v6, 29, v6
	v_and_b32_e32 v30, 7, v30
	v_cndmask_b32_e32 v6, v32, v6, vcc
	v_cndmask_b32_e32 v19, v19, v30, vcc
	v_lshlrev_b32_e32 v0, 24, v0
	v_lshlrev_b32_e32 v19, 20, v19
	v_and_b32_e32 v0, 0x80000000, v0
	v_lshl_add_u32 v6, v6, 23, v27
	v_or3_b32 v19, v0, v6, v19
.LBB2_453:                              ;   in Loop: Header=BB2_377 Depth=2
	s_or_b64 exec, exec, s[72:73]
.LBB2_454:                              ;   in Loop: Header=BB2_377 Depth=2
	s_or_b64 exec, exec, s[62:63]
.LBB2_455:                              ;   in Loop: Header=BB2_377 Depth=2
	s_or_b64 exec, exec, s[16:17]
	v_and_b32_sdwa v6, v42, s35 dst_sel:DWORD dst_unused:UNUSED_PAD src0_sel:WORD_1 src1_sel:DWORD
	v_lshrrev_b32_e32 v0, 16, v42
	v_cmp_ne_u16_e32 vcc, 0, v6
	s_and_saveexec_b64 s[16:17], vcc
	s_cbranch_execz .LBB2_461
; %bb.456:                              ;   in Loop: Header=BB2_377 Depth=2
	v_cmp_ne_u16_e32 vcc, s36, v6
	v_bfrev_b32_e32 v11, 1
	s_and_saveexec_b64 s[62:63], vcc
	s_cbranch_execz .LBB2_460
; %bb.457:                              ;   in Loop: Header=BB2_377 Depth=2
	v_bfe_u32 v6, v42, 16, 7
	v_cmp_ne_u32_e32 vcc, s37, v6
	v_mov_b32_e32 v11, 0x7f800001
	s_and_saveexec_b64 s[72:73], vcc
	s_cbranch_execz .LBB2_459
; %bb.458:                              ;   in Loop: Header=BB2_377 Depth=2
	v_and_b32_e32 v11, 7, v0
	v_lshrrev_b32_e32 v32, 3, v6
	v_cmp_gt_u32_e32 vcc, 8, v6
	v_ffbh_u32_e32 v6, v11
	v_min_u32_e32 v6, 32, v6
	v_subrev_u32_e32 v30, 28, v6
	v_lshlrev_b64 v[30:31], v30, v[0:1]
	v_sub_u32_e32 v0, 29, v6
	v_and_b32_e32 v6, 7, v30
	v_cndmask_b32_e32 v0, v32, v0, vcc
	v_cndmask_b32_e32 v6, v11, v6, vcc
	v_lshlrev_b32_e32 v11, 8, v42
	v_lshlrev_b32_e32 v6, 20, v6
	v_and_b32_e32 v11, 0x80000000, v11
	v_lshl_add_u32 v0, v0, 23, v27
	v_or3_b32 v11, v11, v0, v6
.LBB2_459:                              ;   in Loop: Header=BB2_377 Depth=2
	s_or_b64 exec, exec, s[72:73]
.LBB2_460:                              ;   in Loop: Header=BB2_377 Depth=2
	s_or_b64 exec, exec, s[62:63]
.LBB2_461:                              ;   in Loop: Header=BB2_377 Depth=2
	s_or_b64 exec, exec, s[16:17]
	v_mul_f32_e32 v19, v19, v11
	v_and_b32_e32 v30, 0x7f800000, v19
	v_mov_b32_e32 v31, v43
	v_cmp_ne_u64_e32 vcc, s[46:47], v[30:31]
                                        ; implicit-def: $vgpr11
	s_and_saveexec_b64 s[16:17], vcc
	s_xor_b64 s[62:63], exec, s[16:17]
	s_cbranch_execz .LBB2_475
; %bb.462:                              ;   in Loop: Header=BB2_377 Depth=2
	v_and_b32_e32 v30, 0x7fffffff, v19
	v_mov_b32_e32 v31, v43
	v_cmp_gt_u64_e32 vcc, s[56:57], v[30:31]
	v_and_b32_sdwa v0, v19, s36 dst_sel:DWORD dst_unused:UNUSED_PAD src0_sel:BYTE_3 src1_sel:DWORD
                                        ; implicit-def: $vgpr11
	s_and_saveexec_b64 s[16:17], vcc
	s_xor_b64 s[72:73], exec, s[16:17]
	s_cbranch_execz .LBB2_472
; %bb.463:                              ;   in Loop: Header=BB2_377 Depth=2
	v_mov_b32_e32 v11, 0
	v_cmp_ne_u32_e32 vcc, 0, v19
	s_and_saveexec_b64 s[74:75], vcc
	s_cbranch_execz .LBB2_471
; %bb.464:                              ;   in Loop: Header=BB2_377 Depth=2
	v_bfe_u32 v11, v19, 23, 8
	v_and_b32_e32 v6, 0x7fffff, v19
	v_cmp_gt_u32_e64 s[16:17], s38, v11
	v_sub_u32_e32 v19, 0x79, v11
	v_cmp_eq_u32_e32 vcc, 0, v11
	v_cndmask_b32_e64 v19, 0, v19, s[16:17]
	v_or_b32_e32 v30, 0x800000, v6
	v_cndmask_b32_e32 v19, v19, v5, vcc
	v_cndmask_b32_e32 v30, v30, v6, vcc
	v_add_u32_e32 v6, 20, v19
	v_lshlrev_b64 v[46:47], v6, -1
	v_mov_b32_e32 v31, v43
	v_add_u32_e32 v6, 19, v19
	v_bfi_b32 v46, v46, 0, v30
	v_lshlrev_b64 v[59:60], v6, 1
	v_lshrrev_b64 v[30:31], v19, v[30:31]
	v_bfi_b32 v47, v47, 0, 0
	v_cmp_eq_u64_e64 s[16:17], v[46:47], v[59:60]
	v_mov_b32_e32 v32, v31
	v_mov_b32_e32 v31, v30
	s_and_saveexec_b64 s[76:77], s[16:17]
; %bb.465:                              ;   in Loop: Header=BB2_377 Depth=2
	v_bfe_u32 v6, v30, 20, 1
	v_add_co_u32_e64 v6, s[16:17], v30, v6
	v_add_co_u32_e64 v31, s[16:17], -1, v6
; %bb.466:                              ;   in Loop: Header=BB2_377 Depth=2
	s_or_b64 exec, exec, s[76:77]
	v_add_u32_e32 v6, 0xffffff81, v11
	v_cndmask_b32_e32 v6, v6, v8, vcc
	v_lshrrev_b32_e32 v11, 23, v30
	v_add3_u32 v19, v19, v6, v11
	v_add_u32_e32 v6, 6, v19
	v_and_b32_e32 v11, 0xfffff, v31
	v_add_u32_e32 v30, v11, v30
	v_mov_b32_e32 v31, v43
	v_cmp_ne_u32_e32 vcc, 0, v6
                                        ; implicit-def: $vgpr11
	s_and_saveexec_b64 s[16:17], vcc
	s_xor_b64 s[16:17], exec, s[16:17]
; %bb.467:                              ;   in Loop: Header=BB2_377 Depth=2
	v_cmp_lt_u64_e32 vcc, s[58:59], v[30:31]
	v_add_u32_e32 v11, 7, v19
	v_cndmask_b32_e32 v11, v6, v11, vcc
	v_cndmask_b32_e64 v6, 0, 1, vcc
	v_lshrrev_b64 v[30:31], v6, v[30:31]
; %bb.468:                              ;   in Loop: Header=BB2_377 Depth=2
	s_andn2_saveexec_b64 s[16:17], s[16:17]
; %bb.469:                              ;   in Loop: Header=BB2_377 Depth=2
	v_bfe_u32 v11, v30, 23, 1
; %bb.470:                              ;   in Loop: Header=BB2_377 Depth=2
	s_or_b64 exec, exec, s[16:17]
	v_lshrrev_b64 v[30:31], 20, v[30:31]
	v_cmp_gt_i32_e32 vcc, 16, v11
	v_cndmask_b32_e32 v31, 0, v31, vcc
	v_cndmask_b32_e32 v30, 7, v30, vcc
	v_min_i32_e32 v6, 15, v11
	v_cmp_eq_u64_e64 s[16:17], 0, v[30:31]
	v_lshlrev_b32_e32 v6, 3, v6
	v_cmp_eq_u32_e32 vcc, 0, v11
	v_and_b32_e32 v6, 0xf8, v6
	v_and_or_b32 v6, v30, 7, v6
	s_and_b64 s[16:17], vcc, s[16:17]
	v_cndmask_b32_e64 v6, v6, 0, s[16:17]
	v_or_b32_e32 v11, v6, v0
.LBB2_471:                              ;   in Loop: Header=BB2_377 Depth=2
	s_or_b64 exec, exec, s[74:75]
                                        ; implicit-def: $vgpr0
.LBB2_472:                              ;   in Loop: Header=BB2_377 Depth=2
	s_andn2_saveexec_b64 s[16:17], s[72:73]
; %bb.473:                              ;   in Loop: Header=BB2_377 Depth=2
	v_or_b32_e32 v11, 0x7e, v0
; %bb.474:                              ;   in Loop: Header=BB2_377 Depth=2
	s_or_b64 exec, exec, s[16:17]
                                        ; implicit-def: $vgpr19
.LBB2_475:                              ;   in Loop: Header=BB2_377 Depth=2
	s_andn2_saveexec_b64 s[16:17], s[62:63]
; %bb.476:                              ;   in Loop: Header=BB2_377 Depth=2
	v_or_b32_sdwa v11, v19, s37 dst_sel:DWORD dst_unused:UNUSED_PAD src0_sel:BYTE_3 src1_sel:DWORD
; %bb.477:                              ;   in Loop: Header=BB2_377 Depth=2
	s_or_b64 exec, exec, s[16:17]
	v_cmp_lt_u32_e32 vcc, s39, v18
	v_mov_b32_e32 v19, 0
	v_mov_b32_e32 v30, 0
	s_and_saveexec_b64 s[16:17], vcc
	s_cbranch_execz .LBB2_483
; %bb.478:                              ;   in Loop: Header=BB2_377 Depth=2
	v_lshrrev_b32_e32 v0, 24, v18
	v_cmp_ne_u32_e32 vcc, s36, v0
	v_bfrev_b32_e32 v30, 1
	s_and_saveexec_b64 s[62:63], vcc
	s_cbranch_execz .LBB2_482
; %bb.479:                              ;   in Loop: Header=BB2_377 Depth=2
	v_bfe_u32 v6, v18, 24, 7
	v_cmp_ne_u32_e32 vcc, s37, v6
	v_mov_b32_e32 v30, 0x7f800001
	s_and_saveexec_b64 s[72:73], vcc
	s_cbranch_execz .LBB2_481
; %bb.480:                              ;   in Loop: Header=BB2_377 Depth=2
	v_and_b32_e32 v18, 7, v0
	v_lshrrev_b32_e32 v32, 3, v6
	v_cmp_gt_u32_e32 vcc, 8, v6
	v_ffbh_u32_e32 v6, v18
	v_min_u32_e32 v6, 32, v6
	v_subrev_u32_e32 v30, 28, v6
	v_lshlrev_b64 v[30:31], v30, v[0:1]
	v_sub_u32_e32 v6, 29, v6
	v_and_b32_e32 v30, 7, v30
	v_cndmask_b32_e32 v6, v32, v6, vcc
	v_cndmask_b32_e32 v18, v18, v30, vcc
	v_lshlrev_b32_e32 v0, 24, v0
	v_lshlrev_b32_e32 v18, 20, v18
	v_and_b32_e32 v0, 0x80000000, v0
	v_lshl_add_u32 v6, v6, 23, v27
	v_or3_b32 v30, v0, v6, v18
.LBB2_481:                              ;   in Loop: Header=BB2_377 Depth=2
	s_or_b64 exec, exec, s[72:73]
.LBB2_482:                              ;   in Loop: Header=BB2_377 Depth=2
	s_or_b64 exec, exec, s[62:63]
.LBB2_483:                              ;   in Loop: Header=BB2_377 Depth=2
	s_or_b64 exec, exec, s[16:17]
	v_cmp_lt_u32_e32 vcc, s39, v42
	s_and_saveexec_b64 s[16:17], vcc
	s_cbranch_execz .LBB2_489
; %bb.484:                              ;   in Loop: Header=BB2_377 Depth=2
	v_lshrrev_b32_e32 v0, 24, v42
	v_cmp_ne_u32_sdwa s[72:73], v42, s36 src0_sel:BYTE_3 src1_sel:DWORD
	v_bfrev_b32_e32 v19, 1
	s_and_saveexec_b64 s[62:63], s[72:73]
	s_cbranch_execz .LBB2_488
; %bb.485:                              ;   in Loop: Header=BB2_377 Depth=2
	v_bfe_u32 v6, v42, 24, 7
	v_cmp_ne_u32_e32 vcc, s37, v6
	v_mov_b32_e32 v19, 0x7f800001
	s_and_saveexec_b64 s[72:73], vcc
	s_cbranch_execz .LBB2_487
; %bb.486:                              ;   in Loop: Header=BB2_377 Depth=2
	v_and_b32_e32 v31, 7, v0
	v_lshrrev_b32_e32 v32, 3, v6
	v_cmp_gt_u32_e32 vcc, 8, v6
	v_ffbh_u32_e32 v6, v31
	v_min_u32_e32 v6, 32, v6
	v_subrev_u32_e32 v18, 28, v6
	v_lshlrev_b64 v[18:19], v18, v[0:1]
	v_sub_u32_e32 v0, 29, v6
	v_and_b32_e32 v6, 7, v18
	v_cndmask_b32_e32 v0, v32, v0, vcc
	v_cndmask_b32_e32 v6, v31, v6, vcc
	v_lshlrev_b32_sdwa v18, v9, v42 dst_sel:DWORD dst_unused:UNUSED_PAD src0_sel:DWORD src1_sel:BYTE_3
	v_lshlrev_b32_e32 v6, 20, v6
	v_and_b32_e32 v18, 0x80000000, v18
	v_lshl_add_u32 v0, v0, 23, v27
	v_or3_b32 v19, v18, v0, v6
.LBB2_487:                              ;   in Loop: Header=BB2_377 Depth=2
	s_or_b64 exec, exec, s[72:73]
.LBB2_488:                              ;   in Loop: Header=BB2_377 Depth=2
	s_or_b64 exec, exec, s[62:63]
.LBB2_489:                              ;   in Loop: Header=BB2_377 Depth=2
	s_or_b64 exec, exec, s[16:17]
	v_mul_f32_e32 v18, v30, v19
	v_and_b32_e32 v42, 0x7f800000, v18
	v_cmp_ne_u64_e32 vcc, s[46:47], v[42:43]
                                        ; implicit-def: $vgpr32
	s_and_saveexec_b64 s[16:17], vcc
	s_xor_b64 s[62:63], exec, s[16:17]
	s_cbranch_execz .LBB2_503
; %bb.490:                              ;   in Loop: Header=BB2_377 Depth=2
	v_and_b32_e32 v42, 0x7fffffff, v18
	v_cmp_gt_u64_e32 vcc, s[56:57], v[42:43]
	v_and_b32_sdwa v0, v18, s36 dst_sel:DWORD dst_unused:UNUSED_PAD src0_sel:BYTE_3 src1_sel:DWORD
                                        ; implicit-def: $vgpr32
	s_and_saveexec_b64 s[16:17], vcc
	s_xor_b64 s[72:73], exec, s[16:17]
	s_cbranch_execz .LBB2_500
; %bb.491:                              ;   in Loop: Header=BB2_377 Depth=2
	v_mov_b32_e32 v32, 0
	v_cmp_ne_u32_e32 vcc, 0, v18
	s_and_saveexec_b64 s[74:75], vcc
	s_cbranch_execz .LBB2_499
; %bb.492:                              ;   in Loop: Header=BB2_377 Depth=2
	v_bfe_u32 v32, v18, 23, 8
	v_and_b32_e32 v6, 0x7fffff, v18
	v_cmp_gt_u32_e64 s[16:17], s38, v32
	v_sub_u32_e32 v18, 0x79, v32
	v_cmp_eq_u32_e32 vcc, 0, v32
	v_cndmask_b32_e64 v18, 0, v18, s[16:17]
	v_or_b32_e32 v19, 0x800000, v6
	v_cndmask_b32_e32 v41, v18, v5, vcc
	v_cndmask_b32_e32 v42, v19, v6, vcc
	v_add_u32_e32 v6, 20, v41
	v_lshlrev_b64 v[18:19], v6, -1
	v_add_u32_e32 v6, 19, v41
	v_lshlrev_b64 v[30:31], v6, 1
	v_bfi_b32 v19, v19, 0, 0
	v_bfi_b32 v18, v18, 0, v42
	v_cmp_eq_u64_e64 s[16:17], v[18:19], v[30:31]
	v_lshrrev_b64 v[18:19], v41, v[42:43]
	v_mov_b32_e32 v31, v19
	v_mov_b32_e32 v30, v18
	s_and_saveexec_b64 s[76:77], s[16:17]
; %bb.493:                              ;   in Loop: Header=BB2_377 Depth=2
	v_bfe_u32 v6, v18, 20, 1
	v_add_co_u32_e64 v6, s[16:17], v18, v6
	v_add_co_u32_e64 v30, s[16:17], -1, v6
; %bb.494:                              ;   in Loop: Header=BB2_377 Depth=2
	s_or_b64 exec, exec, s[76:77]
	v_add_u32_e32 v6, 0xffffff81, v32
	v_cndmask_b32_e32 v6, v6, v8, vcc
	v_lshrrev_b32_e32 v19, 23, v18
	v_add3_u32 v31, v41, v6, v19
	v_add_u32_e32 v6, 6, v31
	v_and_b32_e32 v19, 0xfffff, v30
	v_add_u32_e32 v42, v19, v18
	v_cmp_ne_u32_e32 vcc, 0, v6
                                        ; implicit-def: $vgpr18_vgpr19
                                        ; implicit-def: $vgpr30
	s_and_saveexec_b64 s[16:17], vcc
	s_xor_b64 s[16:17], exec, s[16:17]
; %bb.495:                              ;   in Loop: Header=BB2_377 Depth=2
	v_cmp_lt_u64_e32 vcc, s[58:59], v[42:43]
	v_add_u32_e32 v18, 7, v31
	v_cndmask_b32_e32 v30, v6, v18, vcc
	v_cndmask_b32_e64 v6, 0, 1, vcc
	v_lshrrev_b64 v[18:19], v6, v[42:43]
; %bb.496:                              ;   in Loop: Header=BB2_377 Depth=2
	s_andn2_saveexec_b64 s[16:17], s[16:17]
; %bb.497:                              ;   in Loop: Header=BB2_377 Depth=2
	v_mov_b32_e32 v18, v42
	v_bfe_u32 v30, v42, 23, 1
	v_mov_b32_e32 v19, v43
; %bb.498:                              ;   in Loop: Header=BB2_377 Depth=2
	s_or_b64 exec, exec, s[16:17]
	v_lshrrev_b64 v[18:19], 20, v[18:19]
	v_cmp_gt_i32_e32 vcc, 16, v30
	v_cndmask_b32_e32 v19, 0, v19, vcc
	v_cndmask_b32_e32 v18, 7, v18, vcc
	v_min_i32_e32 v6, 15, v30
	v_cmp_eq_u64_e64 s[16:17], 0, v[18:19]
	v_lshlrev_b32_e32 v6, 3, v6
	v_cmp_eq_u32_e32 vcc, 0, v30
	v_and_b32_e32 v6, 0xf8, v6
	v_and_or_b32 v6, v18, 7, v6
	s_and_b64 s[16:17], vcc, s[16:17]
	v_cndmask_b32_e64 v6, v6, 0, s[16:17]
	v_or_b32_e32 v32, v6, v0
.LBB2_499:                              ;   in Loop: Header=BB2_377 Depth=2
	s_or_b64 exec, exec, s[74:75]
                                        ; implicit-def: $vgpr0
.LBB2_500:                              ;   in Loop: Header=BB2_377 Depth=2
	s_andn2_saveexec_b64 s[16:17], s[72:73]
; %bb.501:                              ;   in Loop: Header=BB2_377 Depth=2
	v_or_b32_e32 v32, 0x7e, v0
; %bb.502:                              ;   in Loop: Header=BB2_377 Depth=2
	s_or_b64 exec, exec, s[16:17]
                                        ; implicit-def: $vgpr18
.LBB2_503:                              ;   in Loop: Header=BB2_377 Depth=2
	s_andn2_saveexec_b64 s[16:17], s[62:63]
; %bb.504:                              ;   in Loop: Header=BB2_377 Depth=2
	v_or_b32_sdwa v32, v18, s37 dst_sel:DWORD dst_unused:UNUSED_PAD src0_sel:BYTE_3 src1_sel:DWORD
; %bb.505:                              ;   in Loop: Header=BB2_377 Depth=2
	s_or_b64 exec, exec, s[16:17]
	v_cmp_ne_u16_sdwa s[62:63], v20, v43 src0_sel:BYTE_0 src1_sel:DWORD
	v_mov_b32_e32 v0, 0
	v_mov_b32_e32 v18, 0
	s_and_saveexec_b64 s[16:17], s[62:63]
	s_cbranch_execz .LBB2_511
; %bb.506:                              ;   in Loop: Header=BB2_377 Depth=2
	v_cmp_ne_u16_sdwa s[72:73], v20, s36 src0_sel:BYTE_0 src1_sel:DWORD
	v_bfrev_b32_e32 v18, 1
	s_and_saveexec_b64 s[62:63], s[72:73]
	s_cbranch_execz .LBB2_510
; %bb.507:                              ;   in Loop: Header=BB2_377 Depth=2
	v_and_b32_e32 v6, 0x7f, v20
	v_cmp_ne_u32_e32 vcc, s37, v6
	v_mov_b32_e32 v18, 0x7f800001
	s_and_saveexec_b64 s[72:73], vcc
	s_cbranch_execz .LBB2_509
; %bb.508:                              ;   in Loop: Header=BB2_377 Depth=2
	v_and_b32_e32 v18, 7, v20
	v_lshrrev_b32_e32 v19, 3, v6
	v_cmp_gt_u32_e32 vcc, 8, v6
	v_ffbh_u32_e32 v6, v18
	v_min_u32_e32 v6, 32, v6
	v_subrev_u32_e32 v18, 28, v6
	v_sub_u32_e32 v6, 29, v6
	v_cndmask_b32_e32 v18, 0, v18, vcc
	v_cndmask_b32_e32 v6, v19, v6, vcc
	v_lshlrev_b64 v[18:19], v18, v[20:21]
	v_lshlrev_b32_e32 v19, 24, v20
	v_lshlrev_b32_e32 v18, 20, v18
	v_and_b32_e32 v18, 0x700000, v18
	v_and_b32_e32 v19, 0x80000000, v19
	v_lshl_add_u32 v6, v6, 23, v27
	v_or3_b32 v18, v19, v6, v18
.LBB2_509:                              ;   in Loop: Header=BB2_377 Depth=2
	s_or_b64 exec, exec, s[72:73]
.LBB2_510:                              ;   in Loop: Header=BB2_377 Depth=2
	s_or_b64 exec, exec, s[62:63]
.LBB2_511:                              ;   in Loop: Header=BB2_377 Depth=2
	s_or_b64 exec, exec, s[16:17]
	v_alignbit_b32 v42, v34, v35, v33
	v_cmp_ne_u16_sdwa s[62:63], v42, v43 src0_sel:BYTE_0 src1_sel:DWORD
	s_and_saveexec_b64 s[16:17], s[62:63]
	s_cbranch_execz .LBB2_517
; %bb.512:                              ;   in Loop: Header=BB2_377 Depth=2
	v_cmp_ne_u16_sdwa s[72:73], v42, s36 src0_sel:BYTE_0 src1_sel:DWORD
	v_bfrev_b32_e32 v0, 1
	s_and_saveexec_b64 s[62:63], s[72:73]
	s_cbranch_execz .LBB2_516
; %bb.513:                              ;   in Loop: Header=BB2_377 Depth=2
	v_and_b32_e32 v6, 0x7f, v42
	v_cmp_ne_u32_e32 vcc, s37, v6
	v_mov_b32_e32 v0, 0x7f800001
	s_and_saveexec_b64 s[72:73], vcc
	s_cbranch_execz .LBB2_515
; %bb.514:                              ;   in Loop: Header=BB2_377 Depth=2
	v_and_b32_e32 v0, 7, v42
	v_ffbh_u32_e32 v0, v0
	v_min_u32_e32 v0, 32, v0
	v_lshrrev_b32_e32 v19, 3, v6
	v_cmp_gt_u32_e32 vcc, 8, v6
	v_subrev_u32_e32 v6, 28, v0
	v_cndmask_b32_e32 v6, 0, v6, vcc
	v_lshlrev_b64 v[30:31], v6, v[42:43]
	v_sub_u32_e32 v0, 29, v0
	v_cndmask_b32_e32 v0, v19, v0, vcc
	v_lshlrev_b32_e32 v6, 20, v30
	v_lshlrev_b32_e32 v19, 24, v42
	v_and_b32_e32 v6, 0x700000, v6
	v_and_b32_e32 v19, 0x80000000, v19
	v_lshl_add_u32 v0, v0, 23, v27
	v_or3_b32 v0, v19, v0, v6
.LBB2_515:                              ;   in Loop: Header=BB2_377 Depth=2
	s_or_b64 exec, exec, s[72:73]
.LBB2_516:                              ;   in Loop: Header=BB2_377 Depth=2
	s_or_b64 exec, exec, s[62:63]
.LBB2_517:                              ;   in Loop: Header=BB2_377 Depth=2
	s_or_b64 exec, exec, s[16:17]
	v_mul_f32_e32 v18, v18, v0
	v_and_b32_e32 v30, 0x7f800000, v18
	v_mov_b32_e32 v31, v43
	v_cmp_ne_u64_e32 vcc, s[46:47], v[30:31]
                                        ; implicit-def: $vgpr21
	s_and_saveexec_b64 s[16:17], vcc
	s_xor_b64 s[62:63], exec, s[16:17]
	s_cbranch_execz .LBB2_531
; %bb.518:                              ;   in Loop: Header=BB2_377 Depth=2
	v_and_b32_e32 v30, 0x7fffffff, v18
	v_mov_b32_e32 v31, v43
	v_cmp_gt_u64_e32 vcc, s[56:57], v[30:31]
	v_and_b32_sdwa v0, v18, s36 dst_sel:DWORD dst_unused:UNUSED_PAD src0_sel:BYTE_3 src1_sel:DWORD
                                        ; implicit-def: $vgpr21
	s_and_saveexec_b64 s[16:17], vcc
	s_xor_b64 s[72:73], exec, s[16:17]
	s_cbranch_execz .LBB2_528
; %bb.519:                              ;   in Loop: Header=BB2_377 Depth=2
	v_mov_b32_e32 v21, 0
	v_cmp_ne_u32_e32 vcc, 0, v18
	s_and_saveexec_b64 s[74:75], vcc
	s_cbranch_execz .LBB2_527
; %bb.520:                              ;   in Loop: Header=BB2_377 Depth=2
	v_bfe_u32 v21, v18, 23, 8
	v_and_b32_e32 v6, 0x7fffff, v18
	v_cmp_gt_u32_e64 s[16:17], s38, v21
	v_sub_u32_e32 v18, 0x79, v21
	v_cmp_eq_u32_e32 vcc, 0, v21
	v_cndmask_b32_e64 v18, 0, v18, s[16:17]
	v_or_b32_e32 v19, 0x800000, v6
	v_cndmask_b32_e32 v33, v18, v5, vcc
	v_cndmask_b32_e32 v18, v19, v6, vcc
	v_add_u32_e32 v6, 20, v33
	v_lshlrev_b64 v[30:31], v6, -1
	v_mov_b32_e32 v19, v43
	v_add_u32_e32 v6, 19, v33
	v_bfi_b32 v30, v30, 0, v18
	v_lshlrev_b64 v[34:35], v6, 1
	v_lshrrev_b64 v[18:19], v33, v[18:19]
	v_bfi_b32 v31, v31, 0, 0
	v_cmp_eq_u64_e64 s[16:17], v[30:31], v[34:35]
	v_mov_b32_e32 v31, v19
	v_mov_b32_e32 v30, v18
	s_and_saveexec_b64 s[76:77], s[16:17]
; %bb.521:                              ;   in Loop: Header=BB2_377 Depth=2
	v_bfe_u32 v6, v18, 20, 1
	v_add_co_u32_e64 v6, s[16:17], v18, v6
	v_add_co_u32_e64 v30, s[16:17], -1, v6
; %bb.522:                              ;   in Loop: Header=BB2_377 Depth=2
	s_or_b64 exec, exec, s[76:77]
	v_add_u32_e32 v6, 0xffffff81, v21
	v_cndmask_b32_e32 v6, v6, v8, vcc
	v_lshrrev_b32_e32 v19, 23, v18
	v_add3_u32 v31, v33, v6, v19
	v_add_u32_e32 v6, 6, v31
	v_and_b32_e32 v19, 0xfffff, v30
	v_add_u32_e32 v18, v19, v18
	v_mov_b32_e32 v19, v43
	v_cmp_ne_u32_e32 vcc, 0, v6
                                        ; implicit-def: $vgpr21
	s_and_saveexec_b64 s[16:17], vcc
	s_xor_b64 s[16:17], exec, s[16:17]
; %bb.523:                              ;   in Loop: Header=BB2_377 Depth=2
	v_cmp_lt_u64_e32 vcc, s[58:59], v[18:19]
	v_add_u32_e32 v21, 7, v31
	v_cndmask_b32_e32 v21, v6, v21, vcc
	v_cndmask_b32_e64 v6, 0, 1, vcc
	v_lshrrev_b64 v[18:19], v6, v[18:19]
; %bb.524:                              ;   in Loop: Header=BB2_377 Depth=2
	s_andn2_saveexec_b64 s[16:17], s[16:17]
; %bb.525:                              ;   in Loop: Header=BB2_377 Depth=2
	v_bfe_u32 v21, v18, 23, 1
; %bb.526:                              ;   in Loop: Header=BB2_377 Depth=2
	s_or_b64 exec, exec, s[16:17]
	v_lshrrev_b64 v[18:19], 20, v[18:19]
	v_cmp_gt_i32_e32 vcc, 16, v21
	v_cndmask_b32_e32 v19, 0, v19, vcc
	v_cndmask_b32_e32 v18, 7, v18, vcc
	v_min_i32_e32 v6, 15, v21
	v_cmp_eq_u64_e64 s[16:17], 0, v[18:19]
	v_lshlrev_b32_e32 v6, 3, v6
	v_cmp_eq_u32_e32 vcc, 0, v21
	v_and_b32_e32 v6, 0xf8, v6
	v_and_or_b32 v6, v18, 7, v6
	s_and_b64 s[16:17], vcc, s[16:17]
	v_cndmask_b32_e64 v6, v6, 0, s[16:17]
	v_or_b32_e32 v21, v6, v0
.LBB2_527:                              ;   in Loop: Header=BB2_377 Depth=2
	s_or_b64 exec, exec, s[74:75]
                                        ; implicit-def: $vgpr0
.LBB2_528:                              ;   in Loop: Header=BB2_377 Depth=2
	s_andn2_saveexec_b64 s[16:17], s[72:73]
; %bb.529:                              ;   in Loop: Header=BB2_377 Depth=2
	v_or_b32_e32 v21, 0x7e, v0
; %bb.530:                              ;   in Loop: Header=BB2_377 Depth=2
	s_or_b64 exec, exec, s[16:17]
                                        ; implicit-def: $vgpr18
.LBB2_531:                              ;   in Loop: Header=BB2_377 Depth=2
	s_andn2_saveexec_b64 s[16:17], s[62:63]
; %bb.532:                              ;   in Loop: Header=BB2_377 Depth=2
	v_or_b32_sdwa v21, v18, s37 dst_sel:DWORD dst_unused:UNUSED_PAD src0_sel:BYTE_3 src1_sel:DWORD
; %bb.533:                              ;   in Loop: Header=BB2_377 Depth=2
	s_or_b64 exec, exec, s[16:17]
	v_lshrrev_b16_e32 v0, 8, v20
	v_cmp_ne_u16_e32 vcc, 0, v0
	v_mov_b32_e32 v18, 0
	v_mov_b32_e32 v19, 0
	s_and_saveexec_b64 s[16:17], vcc
	s_cbranch_execz .LBB2_539
; %bb.534:                              ;   in Loop: Header=BB2_377 Depth=2
	v_cmp_ne_u16_e32 vcc, s36, v0
	v_bfrev_b32_e32 v19, 1
	s_and_saveexec_b64 s[62:63], vcc
	s_cbranch_execz .LBB2_538
; %bb.535:                              ;   in Loop: Header=BB2_377 Depth=2
	v_and_b32_e32 v6, 0x7f, v0
	v_cmp_ne_u32_e32 vcc, s37, v6
	v_mov_b32_e32 v19, 0x7f800001
	s_and_saveexec_b64 s[72:73], vcc
	s_cbranch_execz .LBB2_537
; %bb.536:                              ;   in Loop: Header=BB2_377 Depth=2
	v_and_b32_e32 v19, 7, v0
	v_lshrrev_b32_e32 v33, 3, v6
	v_cmp_gt_u32_e32 vcc, 8, v6
	v_ffbh_u32_e32 v6, v19
	v_min_u32_e32 v6, 32, v6
	v_subrev_u32_e32 v30, 28, v6
	v_lshlrev_b64 v[30:31], v30, v[0:1]
	v_sub_u32_e32 v0, 29, v6
	v_and_b32_e32 v6, 7, v30
	v_cndmask_b32_e32 v0, v33, v0, vcc
	v_cndmask_b32_e32 v6, v19, v6, vcc
	v_lshlrev_b32_e32 v19, 16, v20
	v_lshlrev_b32_e32 v6, 20, v6
	v_and_b32_e32 v19, 0x80000000, v19
	v_lshl_add_u32 v0, v0, 23, v27
	v_or3_b32 v19, v19, v0, v6
.LBB2_537:                              ;   in Loop: Header=BB2_377 Depth=2
	s_or_b64 exec, exec, s[72:73]
.LBB2_538:                              ;   in Loop: Header=BB2_377 Depth=2
	s_or_b64 exec, exec, s[62:63]
.LBB2_539:                              ;   in Loop: Header=BB2_377 Depth=2
	s_or_b64 exec, exec, s[16:17]
	v_lshrrev_b16_e32 v0, 8, v42
	v_cmp_ne_u16_e32 vcc, 0, v0
	s_and_saveexec_b64 s[16:17], vcc
	s_cbranch_execz .LBB2_545
; %bb.540:                              ;   in Loop: Header=BB2_377 Depth=2
	v_cmp_ne_u16_e32 vcc, s36, v0
	v_bfrev_b32_e32 v18, 1
	s_and_saveexec_b64 s[62:63], vcc
	s_cbranch_execz .LBB2_544
; %bb.541:                              ;   in Loop: Header=BB2_377 Depth=2
	v_and_b32_e32 v6, 0x7f, v0
	v_cmp_ne_u32_e32 vcc, s37, v6
	v_mov_b32_e32 v18, 0x7f800001
	s_and_saveexec_b64 s[72:73], vcc
	s_cbranch_execz .LBB2_543
; %bb.542:                              ;   in Loop: Header=BB2_377 Depth=2
	v_and_b32_e32 v18, 7, v0
	v_lshrrev_b32_e32 v33, 3, v6
	v_cmp_gt_u32_e32 vcc, 8, v6
	v_ffbh_u32_e32 v6, v18
	v_min_u32_e32 v6, 32, v6
	v_subrev_u32_e32 v30, 28, v6
	v_lshlrev_b64 v[30:31], v30, v[0:1]
	v_sub_u32_e32 v0, 29, v6
	v_and_b32_e32 v6, 7, v30
	v_cndmask_b32_e32 v0, v33, v0, vcc
	v_cndmask_b32_e32 v6, v18, v6, vcc
	v_lshlrev_b32_e32 v18, 16, v42
	v_lshlrev_b32_e32 v6, 20, v6
	v_and_b32_e32 v18, 0x80000000, v18
	v_lshl_add_u32 v0, v0, 23, v27
	v_or3_b32 v18, v18, v0, v6
.LBB2_543:                              ;   in Loop: Header=BB2_377 Depth=2
	s_or_b64 exec, exec, s[72:73]
.LBB2_544:                              ;   in Loop: Header=BB2_377 Depth=2
	s_or_b64 exec, exec, s[62:63]
.LBB2_545:                              ;   in Loop: Header=BB2_377 Depth=2
	s_or_b64 exec, exec, s[16:17]
	v_mul_f32_e32 v18, v19, v18
	v_and_b32_e32 v30, 0x7f800000, v18
	v_mov_b32_e32 v31, v43
	v_cmp_ne_u64_e32 vcc, s[46:47], v[30:31]
                                        ; implicit-def: $vgpr33
	s_and_saveexec_b64 s[16:17], vcc
	s_xor_b64 s[62:63], exec, s[16:17]
	s_cbranch_execz .LBB2_559
; %bb.546:                              ;   in Loop: Header=BB2_377 Depth=2
	v_and_b32_e32 v30, 0x7fffffff, v18
	v_mov_b32_e32 v31, v43
	v_cmp_gt_u64_e32 vcc, s[56:57], v[30:31]
	v_and_b32_sdwa v0, v18, s36 dst_sel:DWORD dst_unused:UNUSED_PAD src0_sel:BYTE_3 src1_sel:DWORD
                                        ; implicit-def: $vgpr33
	s_and_saveexec_b64 s[16:17], vcc
	s_xor_b64 s[72:73], exec, s[16:17]
	s_cbranch_execz .LBB2_556
; %bb.547:                              ;   in Loop: Header=BB2_377 Depth=2
	v_mov_b32_e32 v33, 0
	v_cmp_ne_u32_e32 vcc, 0, v18
	s_and_saveexec_b64 s[74:75], vcc
	s_cbranch_execz .LBB2_555
; %bb.548:                              ;   in Loop: Header=BB2_377 Depth=2
	v_bfe_u32 v33, v18, 23, 8
	v_and_b32_e32 v6, 0x7fffff, v18
	v_cmp_gt_u32_e64 s[16:17], s38, v33
	v_sub_u32_e32 v18, 0x79, v33
	v_cmp_eq_u32_e32 vcc, 0, v33
	v_cndmask_b32_e64 v18, 0, v18, s[16:17]
	v_or_b32_e32 v19, 0x800000, v6
	v_cndmask_b32_e32 v34, v18, v5, vcc
	v_cndmask_b32_e32 v18, v19, v6, vcc
	v_add_u32_e32 v6, 20, v34
	v_lshlrev_b64 v[30:31], v6, -1
	v_mov_b32_e32 v19, v43
	v_add_u32_e32 v6, 19, v34
	v_bfi_b32 v30, v30, 0, v18
	v_lshlrev_b64 v[46:47], v6, 1
	v_lshrrev_b64 v[18:19], v34, v[18:19]
	v_bfi_b32 v31, v31, 0, 0
	v_cmp_eq_u64_e64 s[16:17], v[30:31], v[46:47]
	v_mov_b32_e32 v31, v19
	v_mov_b32_e32 v30, v18
	s_and_saveexec_b64 s[76:77], s[16:17]
; %bb.549:                              ;   in Loop: Header=BB2_377 Depth=2
	v_bfe_u32 v6, v18, 20, 1
	v_add_co_u32_e64 v6, s[16:17], v18, v6
	v_add_co_u32_e64 v30, s[16:17], -1, v6
; %bb.550:                              ;   in Loop: Header=BB2_377 Depth=2
	s_or_b64 exec, exec, s[76:77]
	v_add_u32_e32 v6, 0xffffff81, v33
	v_cndmask_b32_e32 v6, v6, v8, vcc
	v_lshrrev_b32_e32 v19, 23, v18
	v_add3_u32 v31, v34, v6, v19
	v_add_u32_e32 v6, 6, v31
	v_and_b32_e32 v19, 0xfffff, v30
	v_add_u32_e32 v18, v19, v18
	v_mov_b32_e32 v19, v43
	v_cmp_ne_u32_e32 vcc, 0, v6
                                        ; implicit-def: $vgpr30
	s_and_saveexec_b64 s[16:17], vcc
	s_xor_b64 s[16:17], exec, s[16:17]
; %bb.551:                              ;   in Loop: Header=BB2_377 Depth=2
	v_cmp_lt_u64_e32 vcc, s[58:59], v[18:19]
	v_add_u32_e32 v30, 7, v31
	v_cndmask_b32_e32 v30, v6, v30, vcc
	v_cndmask_b32_e64 v6, 0, 1, vcc
	v_lshrrev_b64 v[18:19], v6, v[18:19]
; %bb.552:                              ;   in Loop: Header=BB2_377 Depth=2
	s_andn2_saveexec_b64 s[16:17], s[16:17]
; %bb.553:                              ;   in Loop: Header=BB2_377 Depth=2
	v_bfe_u32 v30, v18, 23, 1
; %bb.554:                              ;   in Loop: Header=BB2_377 Depth=2
	s_or_b64 exec, exec, s[16:17]
	v_lshrrev_b64 v[18:19], 20, v[18:19]
	v_cmp_gt_i32_e32 vcc, 16, v30
	v_cndmask_b32_e32 v19, 0, v19, vcc
	v_cndmask_b32_e32 v18, 7, v18, vcc
	v_min_i32_e32 v6, 15, v30
	v_cmp_eq_u64_e64 s[16:17], 0, v[18:19]
	v_lshlrev_b32_e32 v6, 3, v6
	v_cmp_eq_u32_e32 vcc, 0, v30
	v_and_b32_e32 v6, 0xf8, v6
	v_and_or_b32 v6, v18, 7, v6
	s_and_b64 s[16:17], vcc, s[16:17]
	v_cndmask_b32_e64 v6, v6, 0, s[16:17]
	v_or_b32_e32 v33, v6, v0
.LBB2_555:                              ;   in Loop: Header=BB2_377 Depth=2
	s_or_b64 exec, exec, s[74:75]
                                        ; implicit-def: $vgpr0
.LBB2_556:                              ;   in Loop: Header=BB2_377 Depth=2
	s_andn2_saveexec_b64 s[16:17], s[72:73]
; %bb.557:                              ;   in Loop: Header=BB2_377 Depth=2
	v_or_b32_e32 v33, 0x7e, v0
; %bb.558:                              ;   in Loop: Header=BB2_377 Depth=2
	s_or_b64 exec, exec, s[16:17]
                                        ; implicit-def: $vgpr18
.LBB2_559:                              ;   in Loop: Header=BB2_377 Depth=2
	s_andn2_saveexec_b64 s[16:17], s[62:63]
; %bb.560:                              ;   in Loop: Header=BB2_377 Depth=2
	v_or_b32_sdwa v33, v18, s37 dst_sel:DWORD dst_unused:UNUSED_PAD src0_sel:BYTE_3 src1_sel:DWORD
; %bb.561:                              ;   in Loop: Header=BB2_377 Depth=2
	s_or_b64 exec, exec, s[16:17]
	v_lshrrev_b32_e32 v0, 16, v20
	v_cmp_ne_u16_sdwa s[62:63], v0, v43 src0_sel:BYTE_0 src1_sel:DWORD
	v_mov_b32_e32 v18, 0
	v_mov_b32_e32 v19, 0
	s_and_saveexec_b64 s[16:17], s[62:63]
	s_cbranch_execz .LBB2_567
; %bb.562:                              ;   in Loop: Header=BB2_377 Depth=2
	v_cmp_ne_u16_sdwa s[72:73], v0, s36 src0_sel:BYTE_0 src1_sel:DWORD
	v_bfrev_b32_e32 v19, 1
	s_and_saveexec_b64 s[62:63], s[72:73]
	s_cbranch_execz .LBB2_566
; %bb.563:                              ;   in Loop: Header=BB2_377 Depth=2
	v_bfe_u32 v6, v20, 16, 7
	v_cmp_ne_u32_e32 vcc, s37, v6
	v_mov_b32_e32 v19, 0x7f800001
	s_and_saveexec_b64 s[72:73], vcc
	s_cbranch_execz .LBB2_565
; %bb.564:                              ;   in Loop: Header=BB2_377 Depth=2
	v_and_b32_e32 v19, 7, v0
	v_lshrrev_b32_e32 v34, 3, v6
	v_cmp_gt_u32_e32 vcc, 8, v6
	v_ffbh_u32_e32 v6, v19
	v_min_u32_e32 v6, 32, v6
	v_subrev_u32_e32 v30, 28, v6
	v_lshlrev_b64 v[30:31], v30, v[0:1]
	v_sub_u32_e32 v6, 29, v6
	v_and_b32_e32 v30, 7, v30
	v_cndmask_b32_e32 v6, v34, v6, vcc
	v_cndmask_b32_e32 v19, v19, v30, vcc
	v_lshlrev_b32_e32 v0, 24, v0
	v_lshlrev_b32_e32 v19, 20, v19
	v_and_b32_e32 v0, 0x80000000, v0
	v_lshl_add_u32 v6, v6, 23, v27
	v_or3_b32 v19, v0, v6, v19
.LBB2_565:                              ;   in Loop: Header=BB2_377 Depth=2
	s_or_b64 exec, exec, s[72:73]
.LBB2_566:                              ;   in Loop: Header=BB2_377 Depth=2
	s_or_b64 exec, exec, s[62:63]
.LBB2_567:                              ;   in Loop: Header=BB2_377 Depth=2
	s_or_b64 exec, exec, s[16:17]
	v_and_b32_sdwa v6, v42, s35 dst_sel:DWORD dst_unused:UNUSED_PAD src0_sel:WORD_1 src1_sel:DWORD
	v_lshrrev_b32_e32 v0, 16, v42
	v_cmp_ne_u16_e32 vcc, 0, v6
	s_and_saveexec_b64 s[16:17], vcc
	s_cbranch_execz .LBB2_573
; %bb.568:                              ;   in Loop: Header=BB2_377 Depth=2
	v_cmp_ne_u16_e32 vcc, s36, v6
	v_bfrev_b32_e32 v18, 1
	s_and_saveexec_b64 s[62:63], vcc
	s_cbranch_execz .LBB2_572
; %bb.569:                              ;   in Loop: Header=BB2_377 Depth=2
	v_bfe_u32 v6, v42, 16, 7
	v_cmp_ne_u32_e32 vcc, s37, v6
	v_mov_b32_e32 v18, 0x7f800001
	s_and_saveexec_b64 s[72:73], vcc
	s_cbranch_execz .LBB2_571
; %bb.570:                              ;   in Loop: Header=BB2_377 Depth=2
	v_and_b32_e32 v18, 7, v0
	v_lshrrev_b32_e32 v34, 3, v6
	v_cmp_gt_u32_e32 vcc, 8, v6
	v_ffbh_u32_e32 v6, v18
	v_min_u32_e32 v6, 32, v6
	v_subrev_u32_e32 v30, 28, v6
	v_lshlrev_b64 v[30:31], v30, v[0:1]
	v_sub_u32_e32 v0, 29, v6
	v_and_b32_e32 v6, 7, v30
	v_cndmask_b32_e32 v0, v34, v0, vcc
	v_cndmask_b32_e32 v6, v18, v6, vcc
	v_lshlrev_b32_e32 v18, 8, v42
	v_lshlrev_b32_e32 v6, 20, v6
	v_and_b32_e32 v18, 0x80000000, v18
	v_lshl_add_u32 v0, v0, 23, v27
	v_or3_b32 v18, v18, v0, v6
.LBB2_571:                              ;   in Loop: Header=BB2_377 Depth=2
	s_or_b64 exec, exec, s[72:73]
.LBB2_572:                              ;   in Loop: Header=BB2_377 Depth=2
	s_or_b64 exec, exec, s[62:63]
.LBB2_573:                              ;   in Loop: Header=BB2_377 Depth=2
	s_or_b64 exec, exec, s[16:17]
	v_mul_f32_e32 v18, v19, v18
	v_and_b32_e32 v30, 0x7f800000, v18
	v_mov_b32_e32 v31, v43
	v_cmp_ne_u64_e32 vcc, s[46:47], v[30:31]
                                        ; implicit-def: $vgpr30
	s_and_saveexec_b64 s[16:17], vcc
	s_xor_b64 s[62:63], exec, s[16:17]
	s_cbranch_execz .LBB2_587
; %bb.574:                              ;   in Loop: Header=BB2_377 Depth=2
	v_and_b32_e32 v30, 0x7fffffff, v18
	v_mov_b32_e32 v31, v43
	v_cmp_gt_u64_e32 vcc, s[56:57], v[30:31]
	v_and_b32_sdwa v0, v18, s36 dst_sel:DWORD dst_unused:UNUSED_PAD src0_sel:BYTE_3 src1_sel:DWORD
                                        ; implicit-def: $vgpr30
	s_and_saveexec_b64 s[16:17], vcc
	s_xor_b64 s[72:73], exec, s[16:17]
	s_cbranch_execz .LBB2_584
; %bb.575:                              ;   in Loop: Header=BB2_377 Depth=2
	v_mov_b32_e32 v30, 0
	v_cmp_ne_u32_e32 vcc, 0, v18
	s_and_saveexec_b64 s[74:75], vcc
	s_cbranch_execz .LBB2_583
; %bb.576:                              ;   in Loop: Header=BB2_377 Depth=2
	v_bfe_u32 v34, v18, 23, 8
	v_and_b32_e32 v6, 0x7fffff, v18
	v_cmp_gt_u32_e64 s[16:17], s38, v34
	v_sub_u32_e32 v18, 0x79, v34
	v_cmp_eq_u32_e32 vcc, 0, v34
	v_cndmask_b32_e64 v18, 0, v18, s[16:17]
	v_or_b32_e32 v19, 0x800000, v6
	v_cndmask_b32_e32 v35, v18, v5, vcc
	v_cndmask_b32_e32 v18, v19, v6, vcc
	v_add_u32_e32 v6, 20, v35
	v_lshlrev_b64 v[30:31], v6, -1
	v_mov_b32_e32 v19, v43
	v_add_u32_e32 v6, 19, v35
	v_bfi_b32 v30, v30, 0, v18
	v_lshlrev_b64 v[46:47], v6, 1
	v_lshrrev_b64 v[18:19], v35, v[18:19]
	v_bfi_b32 v31, v31, 0, 0
	v_cmp_eq_u64_e64 s[16:17], v[30:31], v[46:47]
	v_mov_b32_e32 v31, v19
	v_mov_b32_e32 v30, v18
	s_and_saveexec_b64 s[76:77], s[16:17]
; %bb.577:                              ;   in Loop: Header=BB2_377 Depth=2
	v_bfe_u32 v6, v18, 20, 1
	v_add_co_u32_e64 v6, s[16:17], v18, v6
	v_add_co_u32_e64 v30, s[16:17], -1, v6
; %bb.578:                              ;   in Loop: Header=BB2_377 Depth=2
	s_or_b64 exec, exec, s[76:77]
	v_add_u32_e32 v6, 0xffffff81, v34
	v_cndmask_b32_e32 v6, v6, v8, vcc
	v_lshrrev_b32_e32 v19, 23, v18
	v_add3_u32 v31, v35, v6, v19
	v_add_u32_e32 v6, 6, v31
	v_and_b32_e32 v19, 0xfffff, v30
	v_add_u32_e32 v18, v19, v18
	v_mov_b32_e32 v19, v43
	v_cmp_ne_u32_e32 vcc, 0, v6
                                        ; implicit-def: $vgpr30
	s_and_saveexec_b64 s[16:17], vcc
	s_xor_b64 s[16:17], exec, s[16:17]
; %bb.579:                              ;   in Loop: Header=BB2_377 Depth=2
	v_cmp_lt_u64_e32 vcc, s[58:59], v[18:19]
	v_add_u32_e32 v30, 7, v31
	v_cndmask_b32_e32 v30, v6, v30, vcc
	v_cndmask_b32_e64 v6, 0, 1, vcc
	v_lshrrev_b64 v[18:19], v6, v[18:19]
; %bb.580:                              ;   in Loop: Header=BB2_377 Depth=2
	s_andn2_saveexec_b64 s[16:17], s[16:17]
; %bb.581:                              ;   in Loop: Header=BB2_377 Depth=2
	v_bfe_u32 v30, v18, 23, 1
; %bb.582:                              ;   in Loop: Header=BB2_377 Depth=2
	s_or_b64 exec, exec, s[16:17]
	v_lshrrev_b64 v[18:19], 20, v[18:19]
	v_cmp_gt_i32_e32 vcc, 16, v30
	v_cndmask_b32_e32 v19, 0, v19, vcc
	v_cndmask_b32_e32 v18, 7, v18, vcc
	v_min_i32_e32 v6, 15, v30
	v_cmp_eq_u64_e64 s[16:17], 0, v[18:19]
	v_lshlrev_b32_e32 v6, 3, v6
	v_cmp_eq_u32_e32 vcc, 0, v30
	v_and_b32_e32 v6, 0xf8, v6
	v_and_or_b32 v6, v18, 7, v6
	s_and_b64 s[16:17], vcc, s[16:17]
	v_cndmask_b32_e64 v6, v6, 0, s[16:17]
	v_or_b32_e32 v30, v6, v0
.LBB2_583:                              ;   in Loop: Header=BB2_377 Depth=2
	s_or_b64 exec, exec, s[74:75]
                                        ; implicit-def: $vgpr0
.LBB2_584:                              ;   in Loop: Header=BB2_377 Depth=2
	s_andn2_saveexec_b64 s[16:17], s[72:73]
; %bb.585:                              ;   in Loop: Header=BB2_377 Depth=2
	v_or_b32_e32 v30, 0x7e, v0
; %bb.586:                              ;   in Loop: Header=BB2_377 Depth=2
	s_or_b64 exec, exec, s[16:17]
                                        ; implicit-def: $vgpr18
.LBB2_587:                              ;   in Loop: Header=BB2_377 Depth=2
	s_andn2_saveexec_b64 s[16:17], s[62:63]
; %bb.588:                              ;   in Loop: Header=BB2_377 Depth=2
	v_or_b32_sdwa v30, v18, s37 dst_sel:DWORD dst_unused:UNUSED_PAD src0_sel:BYTE_3 src1_sel:DWORD
; %bb.589:                              ;   in Loop: Header=BB2_377 Depth=2
	s_or_b64 exec, exec, s[16:17]
	v_and_b32_e32 v18, 0xff000000, v20
	v_mov_b32_e32 v19, v43
	v_cmp_ne_u64_e32 vcc, 0, v[18:19]
	v_mov_b32_e32 v18, 0
	v_mov_b32_e32 v19, 0
	s_and_saveexec_b64 s[16:17], vcc
	s_cbranch_execz .LBB2_595
; %bb.590:                              ;   in Loop: Header=BB2_377 Depth=2
	v_lshrrev_b32_e32 v0, 24, v20
	v_cmp_ne_u32_e32 vcc, s36, v0
	v_bfrev_b32_e32 v19, 1
	s_and_saveexec_b64 s[62:63], vcc
	s_cbranch_execz .LBB2_594
; %bb.591:                              ;   in Loop: Header=BB2_377 Depth=2
	v_bfe_u32 v6, v20, 24, 7
	v_cmp_ne_u32_e32 vcc, s37, v6
	v_mov_b32_e32 v19, 0x7f800001
	s_and_saveexec_b64 s[72:73], vcc
	s_cbranch_execz .LBB2_593
; %bb.592:                              ;   in Loop: Header=BB2_377 Depth=2
	v_and_b32_e32 v31, 7, v0
	v_lshrrev_b32_e32 v34, 3, v6
	v_cmp_gt_u32_e32 vcc, 8, v6
	v_ffbh_u32_e32 v6, v31
	v_min_u32_e32 v6, 32, v6
	v_subrev_u32_e32 v19, 28, v6
	v_lshlrev_b64 v[19:20], v19, v[0:1]
	v_sub_u32_e32 v6, 29, v6
	v_and_b32_e32 v19, 7, v19
	v_cndmask_b32_e32 v6, v34, v6, vcc
	v_cndmask_b32_e32 v19, v31, v19, vcc
	v_lshlrev_b32_e32 v0, 24, v0
	v_lshlrev_b32_e32 v19, 20, v19
	v_and_b32_e32 v0, 0x80000000, v0
	v_lshl_add_u32 v6, v6, 23, v27
	v_or3_b32 v19, v0, v6, v19
.LBB2_593:                              ;   in Loop: Header=BB2_377 Depth=2
	s_or_b64 exec, exec, s[72:73]
.LBB2_594:                              ;   in Loop: Header=BB2_377 Depth=2
	s_or_b64 exec, exec, s[62:63]
.LBB2_595:                              ;   in Loop: Header=BB2_377 Depth=2
	s_or_b64 exec, exec, s[16:17]
	v_cmp_lt_u32_e32 vcc, s39, v42
	s_and_saveexec_b64 s[16:17], vcc
	s_cbranch_execz .LBB2_601
; %bb.596:                              ;   in Loop: Header=BB2_377 Depth=2
	v_lshrrev_b32_e32 v0, 24, v42
	v_cmp_ne_u32_sdwa s[72:73], v42, s36 src0_sel:BYTE_3 src1_sel:DWORD
	v_bfrev_b32_e32 v18, 1
	s_and_saveexec_b64 s[62:63], s[72:73]
	s_cbranch_execz .LBB2_600
; %bb.597:                              ;   in Loop: Header=BB2_377 Depth=2
	v_bfe_u32 v6, v42, 24, 7
	v_cmp_ne_u32_e32 vcc, s37, v6
	v_mov_b32_e32 v18, 0x7f800001
	s_and_saveexec_b64 s[72:73], vcc
	s_cbranch_execz .LBB2_599
; %bb.598:                              ;   in Loop: Header=BB2_377 Depth=2
	v_and_b32_e32 v18, 7, v0
	v_lshrrev_b32_e32 v20, 3, v6
	v_cmp_gt_u32_e32 vcc, 8, v6
	v_ffbh_u32_e32 v6, v18
	v_min_u32_e32 v6, 32, v6
	v_subrev_u32_e32 v31, 28, v6
	v_lshlrev_b64 v[34:35], v31, v[0:1]
	v_sub_u32_e32 v0, 29, v6
	v_and_b32_e32 v6, 7, v34
	v_cndmask_b32_e32 v0, v20, v0, vcc
	v_cndmask_b32_e32 v6, v18, v6, vcc
	v_lshlrev_b32_sdwa v18, v9, v42 dst_sel:DWORD dst_unused:UNUSED_PAD src0_sel:DWORD src1_sel:BYTE_3
	v_lshlrev_b32_e32 v6, 20, v6
	v_and_b32_e32 v18, 0x80000000, v18
	v_lshl_add_u32 v0, v0, 23, v27
	v_or3_b32 v18, v18, v0, v6
.LBB2_599:                              ;   in Loop: Header=BB2_377 Depth=2
	s_or_b64 exec, exec, s[72:73]
.LBB2_600:                              ;   in Loop: Header=BB2_377 Depth=2
	s_or_b64 exec, exec, s[62:63]
.LBB2_601:                              ;   in Loop: Header=BB2_377 Depth=2
	s_or_b64 exec, exec, s[16:17]
	v_mul_f32_e32 v18, v19, v18
	v_and_b32_e32 v42, 0x7f800000, v18
	v_cmp_ne_u64_e32 vcc, s[46:47], v[42:43]
                                        ; implicit-def: $vgpr19
	s_and_saveexec_b64 s[16:17], vcc
	s_xor_b64 s[62:63], exec, s[16:17]
	s_cbranch_execz .LBB2_615
; %bb.602:                              ;   in Loop: Header=BB2_377 Depth=2
	v_and_b32_e32 v42, 0x7fffffff, v18
	v_cmp_gt_u64_e32 vcc, s[56:57], v[42:43]
	v_and_b32_sdwa v0, v18, s36 dst_sel:DWORD dst_unused:UNUSED_PAD src0_sel:BYTE_3 src1_sel:DWORD
                                        ; implicit-def: $vgpr19
	s_and_saveexec_b64 s[16:17], vcc
	s_xor_b64 s[72:73], exec, s[16:17]
	s_cbranch_execz .LBB2_612
; %bb.603:                              ;   in Loop: Header=BB2_377 Depth=2
	v_mov_b32_e32 v19, 0
	v_cmp_ne_u32_e32 vcc, 0, v18
	s_and_saveexec_b64 s[74:75], vcc
	s_cbranch_execz .LBB2_611
; %bb.604:                              ;   in Loop: Header=BB2_377 Depth=2
	v_bfe_u32 v31, v18, 23, 8
	v_and_b32_e32 v6, 0x7fffff, v18
	v_cmp_gt_u32_e64 s[16:17], s38, v31
	v_sub_u32_e32 v18, 0x79, v31
	v_cmp_eq_u32_e32 vcc, 0, v31
	v_cndmask_b32_e64 v18, 0, v18, s[16:17]
	v_or_b32_e32 v19, 0x800000, v6
	v_cndmask_b32_e32 v34, v18, v5, vcc
	v_cndmask_b32_e32 v42, v19, v6, vcc
	v_add_u32_e32 v6, 20, v34
	v_lshlrev_b64 v[18:19], v6, -1
	v_add_u32_e32 v6, 19, v34
	v_lshlrev_b64 v[46:47], v6, 1
	v_bfi_b32 v19, v19, 0, 0
	v_bfi_b32 v18, v18, 0, v42
	v_cmp_eq_u64_e64 s[16:17], v[18:19], v[46:47]
	v_lshrrev_b64 v[18:19], v34, v[42:43]
	v_mov_b32_e32 v20, v19
	v_mov_b32_e32 v19, v18
	s_and_saveexec_b64 s[76:77], s[16:17]
; %bb.605:                              ;   in Loop: Header=BB2_377 Depth=2
	v_bfe_u32 v6, v18, 20, 1
	v_add_co_u32_e64 v6, s[16:17], v18, v6
	v_add_co_u32_e64 v19, s[16:17], -1, v6
; %bb.606:                              ;   in Loop: Header=BB2_377 Depth=2
	s_or_b64 exec, exec, s[76:77]
	v_add_u32_e32 v6, 0xffffff81, v31
	v_cndmask_b32_e32 v6, v6, v8, vcc
	v_lshrrev_b32_e32 v20, 23, v18
	v_add3_u32 v31, v34, v6, v20
	v_add_u32_e32 v6, 6, v31
	v_and_b32_e32 v19, 0xfffff, v19
	v_add_u32_e32 v42, v19, v18
	v_cmp_ne_u32_e32 vcc, 0, v6
                                        ; implicit-def: $vgpr18_vgpr19
                                        ; implicit-def: $vgpr20
	s_and_saveexec_b64 s[16:17], vcc
	s_xor_b64 s[16:17], exec, s[16:17]
; %bb.607:                              ;   in Loop: Header=BB2_377 Depth=2
	v_cmp_lt_u64_e32 vcc, s[58:59], v[42:43]
	v_add_u32_e32 v18, 7, v31
	v_cndmask_b32_e32 v20, v6, v18, vcc
	v_cndmask_b32_e64 v6, 0, 1, vcc
	v_lshrrev_b64 v[18:19], v6, v[42:43]
; %bb.608:                              ;   in Loop: Header=BB2_377 Depth=2
	s_andn2_saveexec_b64 s[16:17], s[16:17]
; %bb.609:                              ;   in Loop: Header=BB2_377 Depth=2
	v_mov_b32_e32 v18, v42
	v_bfe_u32 v20, v42, 23, 1
	v_mov_b32_e32 v19, v43
; %bb.610:                              ;   in Loop: Header=BB2_377 Depth=2
	s_or_b64 exec, exec, s[16:17]
	v_lshrrev_b64 v[18:19], 20, v[18:19]
	v_cmp_gt_i32_e32 vcc, 16, v20
	v_cndmask_b32_e32 v19, 0, v19, vcc
	v_cndmask_b32_e32 v18, 7, v18, vcc
	v_min_i32_e32 v6, 15, v20
	v_cmp_eq_u64_e64 s[16:17], 0, v[18:19]
	v_lshlrev_b32_e32 v6, 3, v6
	v_cmp_eq_u32_e32 vcc, 0, v20
	v_and_b32_e32 v6, 0xf8, v6
	v_and_or_b32 v6, v18, 7, v6
	s_and_b64 s[16:17], vcc, s[16:17]
	v_cndmask_b32_e64 v6, v6, 0, s[16:17]
	v_or_b32_e32 v19, v6, v0
.LBB2_611:                              ;   in Loop: Header=BB2_377 Depth=2
	s_or_b64 exec, exec, s[74:75]
                                        ; implicit-def: $vgpr0
.LBB2_612:                              ;   in Loop: Header=BB2_377 Depth=2
	s_andn2_saveexec_b64 s[16:17], s[72:73]
; %bb.613:                              ;   in Loop: Header=BB2_377 Depth=2
	v_or_b32_e32 v19, 0x7e, v0
; %bb.614:                              ;   in Loop: Header=BB2_377 Depth=2
	s_or_b64 exec, exec, s[16:17]
                                        ; implicit-def: $vgpr18
.LBB2_615:                              ;   in Loop: Header=BB2_377 Depth=2
	s_andn2_saveexec_b64 s[16:17], s[62:63]
; %bb.616:                              ;   in Loop: Header=BB2_377 Depth=2
	v_or_b32_sdwa v19, v18, s37 dst_sel:DWORD dst_unused:UNUSED_PAD src0_sel:BYTE_3 src1_sel:DWORD
; %bb.617:                              ;   in Loop: Header=BB2_377 Depth=2
	s_or_b64 exec, exec, s[16:17]
	v_lshlrev_b32_e32 v0, 16, v11
	v_lshlrev_b32_e32 v6, 24, v32
	v_lshl_or_b32 v0, v10, 8, v0
	v_or3_b32 v18, v0, v6, v7
	v_lshlrev_b32_e32 v6, 16, v30
	v_lshlrev_b32_e32 v0, 24, v19
	v_lshl_or_b32 v6, v33, 8, v6
	v_cmp_lt_u32_e32 vcc, 7, v26
	v_or3_b32 v19, v6, v0, v21
	s_cmp_lg_u64 vcc, exec
	s_mov_b64 s[16:17], -1
	s_cbranch_scc0 .LBB2_627
; %bb.618:                              ;   in Loop: Header=BB2_377 Depth=2
	v_cmp_ne_u32_e64 s[16:17], 1, v26
	flat_store_byte v[56:57], v7
	s_and_saveexec_b64 s[62:63], s[16:17]
	s_cbranch_execz .LBB2_629
; %bb.619:                              ;   in Loop: Header=BB2_377 Depth=2
	v_lshrrev_b32_e32 v0, 8, v18
	flat_store_byte v[56:57], v0 offset:1
	s_or_b64 exec, exec, s[62:63]
	v_cmp_lt_u32_e64 s[16:17], 2, v26
	s_and_saveexec_b64 s[62:63], s[16:17]
	s_cbranch_execnz .LBB2_630
.LBB2_620:                              ;   in Loop: Header=BB2_377 Depth=2
	s_or_b64 exec, exec, s[62:63]
	v_cmp_lt_u32_e64 s[16:17], 3, v26
	s_and_saveexec_b64 s[62:63], s[16:17]
	s_cbranch_execz .LBB2_631
.LBB2_621:                              ;   in Loop: Header=BB2_377 Depth=2
	v_lshrrev_b32_e32 v0, 24, v18
	flat_store_byte v[56:57], v0 offset:3
	s_or_b64 exec, exec, s[62:63]
	v_cmp_lt_u32_e64 s[16:17], 4, v26
	s_and_saveexec_b64 s[62:63], s[16:17]
	s_cbranch_execnz .LBB2_632
.LBB2_622:                              ;   in Loop: Header=BB2_377 Depth=2
	s_or_b64 exec, exec, s[62:63]
	v_cmp_lt_u32_e64 s[16:17], 5, v26
	s_and_saveexec_b64 s[62:63], s[16:17]
	s_cbranch_execz .LBB2_633
.LBB2_623:                              ;   in Loop: Header=BB2_377 Depth=2
	v_lshrrev_b32_e32 v0, 8, v19
	flat_store_byte v[56:57], v0 offset:5
	s_or_b64 exec, exec, s[62:63]
	v_cmp_lt_u32_e64 s[16:17], 6, v26
	s_and_saveexec_b64 s[62:63], s[16:17]
	s_cbranch_execnz .LBB2_634
.LBB2_624:                              ;   in Loop: Header=BB2_377 Depth=2
	s_or_b64 exec, exec, s[62:63]
	s_and_saveexec_b64 s[16:17], vcc
	s_cbranch_execz .LBB2_626
.LBB2_625:                              ;   in Loop: Header=BB2_377 Depth=2
	v_lshrrev_b32_e32 v0, 24, v19
	flat_store_byte v[56:57], v0 offset:7
.LBB2_626:                              ;   in Loop: Header=BB2_377 Depth=2
	s_or_b64 exec, exec, s[16:17]
	s_mov_b64 s[16:17], 0
.LBB2_627:                              ;   in Loop: Header=BB2_377 Depth=2
	s_and_b64 vcc, exec, s[16:17]
	s_cbranch_vccz .LBB2_376
; %bb.628:                              ;   in Loop: Header=BB2_377 Depth=2
	global_store_dwordx2 v[56:57], v[18:19], off
	s_branch .LBB2_376
.LBB2_629:                              ;   in Loop: Header=BB2_377 Depth=2
	s_or_b64 exec, exec, s[62:63]
	v_cmp_lt_u32_e64 s[16:17], 2, v26
	s_and_saveexec_b64 s[62:63], s[16:17]
	s_cbranch_execz .LBB2_620
.LBB2_630:                              ;   in Loop: Header=BB2_377 Depth=2
	flat_store_byte_d16_hi v[56:57], v18 offset:2
	s_or_b64 exec, exec, s[62:63]
	v_cmp_lt_u32_e64 s[16:17], 3, v26
	s_and_saveexec_b64 s[62:63], s[16:17]
	s_cbranch_execnz .LBB2_621
.LBB2_631:                              ;   in Loop: Header=BB2_377 Depth=2
	s_or_b64 exec, exec, s[62:63]
	v_cmp_lt_u32_e64 s[16:17], 4, v26
	s_and_saveexec_b64 s[62:63], s[16:17]
	s_cbranch_execz .LBB2_622
.LBB2_632:                              ;   in Loop: Header=BB2_377 Depth=2
	flat_store_byte v[56:57], v21 offset:4
	s_or_b64 exec, exec, s[62:63]
	v_cmp_lt_u32_e64 s[16:17], 5, v26
	s_and_saveexec_b64 s[62:63], s[16:17]
	s_cbranch_execnz .LBB2_623
.LBB2_633:                              ;   in Loop: Header=BB2_377 Depth=2
	s_or_b64 exec, exec, s[62:63]
	v_cmp_lt_u32_e64 s[16:17], 6, v26
	s_and_saveexec_b64 s[62:63], s[16:17]
	s_cbranch_execz .LBB2_624
.LBB2_634:                              ;   in Loop: Header=BB2_377 Depth=2
	flat_store_byte_d16_hi v[56:57], v19 offset:6
	s_or_b64 exec, exec, s[62:63]
	s_and_saveexec_b64 s[16:17], vcc
	s_cbranch_execnz .LBB2_625
	s_branch .LBB2_626
.LBB2_635:                              ;   in Loop: Header=BB2_21 Depth=1
	s_or_b64 exec, exec, s[60:61]
	buffer_load_dword v34, off, s[0:3], s32 offset:156 ; 4-byte Folded Reload
	buffer_load_dword v50, off, s[0:3], s32 offset:100 ; 4-byte Folded Reload
	;; [unrolled: 1-line block ×3, first 2 shown]
.LBB2_636:                              ;   in Loop: Header=BB2_21 Depth=1
	s_or_b64 exec, exec, s[18:19]
	buffer_load_dword v18, off, s[0:3], s32 offset:116 ; 4-byte Folded Reload
	buffer_load_dword v19, off, s[0:3], s32 offset:120 ; 4-byte Folded Reload
	;; [unrolled: 1-line block ×6, first 2 shown]
	s_waitcnt vmcnt(0)
	v_mov_b32_e32 v10, v20
	v_mov_b32_e32 v11, v21
	s_and_saveexec_b64 s[16:17], s[10:11]
	s_cbranch_execz .LBB2_655
; %bb.637:                              ;   in Loop: Header=BB2_21 Depth=1
	s_and_saveexec_b64 s[18:19], s[40:41]
	s_xor_b64 s[18:19], exec, s[18:19]
	s_cbranch_execz .LBB2_652
; %bb.638:                              ;   in Loop: Header=BB2_21 Depth=1
	s_and_saveexec_b64 s[60:61], s[12:13]
	s_cbranch_execz .LBB2_651
; %bb.639:                              ;   in Loop: Header=BB2_21 Depth=1
	s_mov_b64 s[72:73], exec
	s_waitcnt lgkmcnt(0)
	v_mbcnt_lo_u32_b32 v0, s72, 0
	v_mbcnt_hi_u32_b32 v0, s73, v0
	v_cmp_eq_u32_e32 vcc, 0, v0
	buffer_wbinvl1_vol
	s_and_saveexec_b64 s[62:63], vcc
	s_cbranch_execz .LBB2_641
; %bb.640:                              ;   in Loop: Header=BB2_21 Depth=1
	s_bcnt1_i32_b64 s26, s[72:73]
	v_mov_b32_e32 v42, s26
	ds_add_u64 v0, v[42:43]
	s_trap 2
.LBB2_641:                              ;   in Loop: Header=BB2_21 Depth=1
	s_or_b64 exec, exec, s[62:63]
	s_trap 2
	ds_read_b64 v[6:7], v0
	s_waitcnt lgkmcnt(0)
	buffer_load_dword v0, off, s[0:3], s32 offset:96 ; 4-byte Folded Reload
	s_waitcnt vmcnt(0)
	v_add_co_u32_e32 v2, vcc, v2, v0
	v_addc_co_u32_e32 v3, vcc, 0, v3, vcc
	v_cmp_lt_u64_e32 vcc, v[6:7], v[2:3]
	s_and_saveexec_b64 s[62:63], vcc
	s_cbranch_execz .LBB2_650
; %bb.642:                              ;   in Loop: Header=BB2_21 Depth=1
	s_mov_b32 s26, 0
	s_mov_b64 s[72:73], 0
                                        ; implicit-def: $sgpr74_sgpr75
                                        ; implicit-def: $sgpr76_sgpr77
	s_branch .LBB2_644
.LBB2_643:                              ;   in Loop: Header=BB2_644 Depth=2
	s_or_b64 exec, exec, s[88:89]
	s_and_b64 s[78:79], exec, s[90:91]
	s_or_b64 s[72:73], s[78:79], s[72:73]
	s_andn2_b64 s[74:75], s[74:75], exec
	s_and_b64 s[78:79], s[76:77], exec
	s_or_b64 s[74:75], s[74:75], s[78:79]
	s_andn2_b64 exec, exec, s[72:73]
	s_cbranch_execz .LBB2_648
.LBB2_644:                              ;   Parent Loop BB2_21 Depth=1
                                        ; =>  This Inner Loop Header: Depth=2
	s_add_i32 s26, s26, 1
	s_cmpk_lg_i32 s26, 0x2710
	s_cselect_b64 s[78:79], -1, 0
	s_and_b64 vcc, exec, s[78:79]
	s_cbranch_vccz .LBB2_646
; %bb.645:                              ;   in Loop: Header=BB2_644 Depth=2
	s_mov_b64 s[90:91], -1
	s_or_b64 s[76:77], s[76:77], exec
	s_and_saveexec_b64 s[88:89], s[78:79]
	s_cbranch_execz .LBB2_643
	s_branch .LBB2_647
.LBB2_646:                              ;   in Loop: Header=BB2_644 Depth=2
	s_trap 2
	ds_read_b64 v[6:7], v0
	s_andn2_b64 s[78:79], s[78:79], exec
	s_mov_b32 s26, 0
	s_waitcnt lgkmcnt(0)
	flat_load_dword v0, v[6:7] glc
	s_waitcnt vmcnt(0) lgkmcnt(0)
	buffer_wbinvl1_vol
	v_cmp_eq_u32_e32 vcc, 0, v0
	s_and_b64 s[88:89], vcc, exec
	s_or_b64 s[78:79], s[78:79], s[88:89]
	s_mov_b64 s[90:91], -1
	s_or_b64 s[76:77], s[76:77], exec
	s_and_saveexec_b64 s[88:89], s[78:79]
	s_cbranch_execz .LBB2_643
.LBB2_647:                              ;   in Loop: Header=BB2_644 Depth=2
	s_sleep 1
	s_trap 2
	ds_read_b64 v[6:7], v0
	s_waitcnt lgkmcnt(0)
	s_andn2_b64 s[76:77], s[76:77], exec
	v_cmp_ge_u64_e32 vcc, v[6:7], v[2:3]
	s_orn2_b64 s[90:91], vcc, exec
	s_branch .LBB2_643
.LBB2_648:                              ;   in Loop: Header=BB2_21 Depth=1
	s_or_b64 exec, exec, s[72:73]
	s_and_saveexec_b64 s[72:73], s[74:75]
	s_xor_b64 s[72:73], exec, s[72:73]
	s_cbranch_execz .LBB2_650
; %bb.649:                              ;   in Loop: Header=BB2_21 Depth=1
	v_mov_b32_e32 v0, 1
	ds_write_b32 v0, v0
	s_trap 2
.LBB2_650:                              ;   in Loop: Header=BB2_21 Depth=1
	s_or_b64 exec, exec, s[62:63]
	;;#ASMSTART
	s_wakeup
	;;#ASMEND
.LBB2_651:                              ;   in Loop: Header=BB2_21 Depth=1
	s_or_b64 exec, exec, s[60:61]
.LBB2_652:                              ;   in Loop: Header=BB2_21 Depth=1
	s_andn2_saveexec_b64 s[18:19], s[18:19]
	s_cbranch_execz .LBB2_654
; %bb.653:                              ;   in Loop: Header=BB2_21 Depth=1
	s_waitcnt lgkmcnt(0)
	buffer_wbinvl1_vol
	s_barrier
.LBB2_654:                              ;   in Loop: Header=BB2_21 Depth=1
	s_or_b64 exec, exec, s[18:19]
.LBB2_655:                              ;   in Loop: Header=BB2_21 Depth=1
	s_or_b64 exec, exec, s[16:17]
	s_and_saveexec_b64 s[16:17], s[14:15]
	s_cbranch_execz .LBB2_20
; %bb.656:                              ;   in Loop: Header=BB2_21 Depth=1
	buffer_load_dword v6, off, s[0:3], s32 offset:68 ; 4-byte Folded Reload
	buffer_load_dword v7, off, s[0:3], s32 offset:72 ; 4-byte Folded Reload
	v_add_co_u32_e32 v48, vcc, 1, v48
	v_addc_co_u32_e32 v49, vcc, 0, v49, vcc
	s_waitcnt vmcnt(0)
	flat_store_dwordx2 v[6:7], v[48:49]
	s_branch .LBB2_20
.LBB2_657:
	s_or_b64 exec, exec, s[28:29]
	buffer_load_dword v31, off, s[0:3], s32 offset:212 ; 4-byte Folded Reload
	buffer_load_dword v12, off, s[0:3], s32 offset:216 ; 4-byte Folded Reload
	buffer_load_dword v26, off, s[0:3], s32 offset:220 ; 4-byte Folded Reload
	buffer_load_dword v27, off, s[0:3], s32 offset:224 ; 4-byte Folded Reload
	buffer_load_dword v28, off, s[0:3], s32 offset:228 ; 4-byte Folded Reload
	buffer_load_dword v29, off, s[0:3], s32 offset:232 ; 4-byte Folded Reload
.LBB2_658:
	s_or_b64 exec, exec, s[24:25]
	s_and_saveexec_b64 s[6:7], s[22:23]
	s_cbranch_execz .LBB2_661
; %bb.659:
	s_waitcnt vmcnt(0) lgkmcnt(0)
	flat_store_dwordx2 v[28:29], v[48:49] offset:104
	s_or_b64 exec, exec, s[6:7]
	s_and_saveexec_b64 s[6:7], s[4:5]
	s_cbranch_execnz .LBB2_662
.LBB2_660:
	s_or_b64 exec, exec, s[6:7]
	v_cmp_ne_u32_e32 vcc, 64, v1
	s_and_saveexec_b64 s[4:5], vcc
	s_cbranch_execnz .LBB2_663
	s_branch .LBB2_680
.LBB2_661:
	s_or_b64 exec, exec, s[6:7]
	s_and_saveexec_b64 s[6:7], s[4:5]
	s_cbranch_execz .LBB2_660
.LBB2_662:
	s_waitcnt vmcnt(0) lgkmcnt(0)
	flat_store_dwordx2 v[26:27], v[16:17] offset:104
	s_or_b64 exec, exec, s[6:7]
	v_cmp_ne_u32_e32 vcc, 64, v1
	s_and_saveexec_b64 s[4:5], vcc
	s_cbranch_execz .LBB2_680
.LBB2_663:
	s_waitcnt vmcnt(0)
	v_cmp_ne_u32_sdwa s[6:7], v1, v12 src0_sel:DWORD src1_sel:WORD_0
	s_and_saveexec_b64 s[8:9], s[6:7]
	s_xor_b64 s[6:7], exec, s[8:9]
	s_cbranch_execz .LBB2_678
; %bb.664:
	s_waitcnt lgkmcnt(0)
	v_and_b32_e32 v0, 63, v31
	v_cmp_eq_u32_e32 vcc, 0, v0
	s_and_saveexec_b64 s[8:9], vcc
	s_cbranch_execz .LBB2_677
; %bb.665:
	s_mov_b64 s[12:13], exec
	v_mbcnt_lo_u32_b32 v0, s12, 0
	v_mbcnt_hi_u32_b32 v0, s13, v0
	v_cmp_eq_u32_e32 vcc, 0, v0
	buffer_wbinvl1_vol
	s_and_saveexec_b64 s[10:11], vcc
	s_cbranch_execz .LBB2_667
; %bb.666:
	s_bcnt1_i32_b64 s12, s[12:13]
	v_mov_b32_e32 v4, s12
	v_mov_b32_e32 v5, 0
	ds_add_u64 v0, v[4:5]
	s_trap 2
.LBB2_667:
	s_or_b64 exec, exec, s[10:11]
	v_lshrrev_b32_e32 v0, 6, v1
	s_trap 2
	ds_read_b64 v[4:5], v0
	s_waitcnt lgkmcnt(0)
	v_add_co_u32_e32 v0, vcc, v2, v0
	v_addc_co_u32_e32 v1, vcc, 0, v3, vcc
	v_cmp_lt_u64_e32 vcc, v[4:5], v[0:1]
	s_and_saveexec_b64 s[10:11], vcc
	s_cbranch_execz .LBB2_676
; %bb.668:
	s_mov_b32 s24, 0
	s_mov_b64 s[12:13], 0
                                        ; implicit-def: $sgpr14_sgpr15
                                        ; implicit-def: $sgpr16_sgpr17
	s_branch .LBB2_670
.LBB2_669:                              ;   in Loop: Header=BB2_670 Depth=1
	s_or_b64 exec, exec, s[20:21]
	s_and_b64 s[18:19], exec, s[22:23]
	s_or_b64 s[12:13], s[18:19], s[12:13]
	s_andn2_b64 s[14:15], s[14:15], exec
	s_and_b64 s[18:19], s[16:17], exec
	s_or_b64 s[14:15], s[14:15], s[18:19]
	s_andn2_b64 exec, exec, s[12:13]
	s_cbranch_execz .LBB2_674
.LBB2_670:                              ; =>This Inner Loop Header: Depth=1
	s_add_i32 s24, s24, 1
	s_cmpk_lg_i32 s24, 0x2710
	s_cselect_b64 s[18:19], -1, 0
	s_and_b64 vcc, exec, s[18:19]
	s_cbranch_vccz .LBB2_672
; %bb.671:                              ;   in Loop: Header=BB2_670 Depth=1
	s_mov_b64 s[22:23], -1
	s_or_b64 s[16:17], s[16:17], exec
	s_and_saveexec_b64 s[20:21], s[18:19]
	s_cbranch_execz .LBB2_669
	s_branch .LBB2_673
.LBB2_672:                              ;   in Loop: Header=BB2_670 Depth=1
	s_trap 2
	ds_read_b64 v[2:3], v0
	s_andn2_b64 s[18:19], s[18:19], exec
	s_mov_b32 s24, 0
	s_waitcnt lgkmcnt(0)
	flat_load_dword v2, v[2:3] glc
	s_waitcnt vmcnt(0) lgkmcnt(0)
	buffer_wbinvl1_vol
	v_cmp_eq_u32_e32 vcc, 0, v2
	s_and_b64 s[20:21], vcc, exec
	s_or_b64 s[18:19], s[18:19], s[20:21]
	s_mov_b64 s[22:23], -1
	s_or_b64 s[16:17], s[16:17], exec
	s_and_saveexec_b64 s[20:21], s[18:19]
	s_cbranch_execz .LBB2_669
.LBB2_673:                              ;   in Loop: Header=BB2_670 Depth=1
	s_sleep 1
	s_trap 2
	ds_read_b64 v[2:3], v0
	s_waitcnt lgkmcnt(0)
	s_andn2_b64 s[16:17], s[16:17], exec
	v_cmp_ge_u64_e32 vcc, v[2:3], v[0:1]
	s_orn2_b64 s[22:23], vcc, exec
	s_branch .LBB2_669
.LBB2_674:
	s_or_b64 exec, exec, s[12:13]
	s_and_saveexec_b64 s[12:13], s[14:15]
	s_xor_b64 s[12:13], exec, s[12:13]
	s_cbranch_execz .LBB2_676
; %bb.675:
	v_mov_b32_e32 v0, 1
	ds_write_b32 v0, v0
	s_trap 2
.LBB2_676:
	s_or_b64 exec, exec, s[10:11]
	;;#ASMSTART
	s_wakeup
	;;#ASMEND
.LBB2_677:
	s_or_b64 exec, exec, s[8:9]
.LBB2_678:
	s_andn2_saveexec_b64 s[6:7], s[6:7]
	s_cbranch_execz .LBB2_680
; %bb.679:
	s_waitcnt lgkmcnt(0)
	buffer_wbinvl1_vol
	s_barrier
.LBB2_680:
	s_or_b64 exec, exec, s[4:5]
	buffer_load_dword v62, off, s[0:3], s32 ; 4-byte Folded Reload
	buffer_load_dword v61, off, s[0:3], s32 offset:4 ; 4-byte Folded Reload
	buffer_load_dword v60, off, s[0:3], s32 offset:8 ; 4-byte Folded Reload
	;; [unrolled: 1-line block ×14, first 2 shown]
	v_readlane_b32 s30, v63, 7
	v_readlane_b32 s31, v63, 8
	;; [unrolled: 1-line block ×9, first 2 shown]
	s_or_saveexec_b64 s[4:5], -1
	buffer_load_dword v63, off, s[0:3], s32 offset:236 ; 4-byte Folded Reload
	s_mov_b64 exec, s[4:5]
	s_waitcnt vmcnt(0) lgkmcnt(0)
	s_setpc_b64 s[30:31]
.Lfunc_end2:
	.size	_ZN12_GLOBAL__N_17runRingI14__hip_fp8_e4m38FuncProdIS1_E7ProtoLLLi0ELi2ELi0EEEviiP15ncclDevWorkColl, .Lfunc_end2-_ZN12_GLOBAL__N_17runRingI14__hip_fp8_e4m38FuncProdIS1_E7ProtoLLLi0ELi2ELi0EEEviiP15ncclDevWorkColl
                                        ; -- End function
	.set .L_ZN12_GLOBAL__N_17runRingI14__hip_fp8_e4m38FuncProdIS1_E7ProtoLLLi0ELi2ELi0EEEviiP15ncclDevWorkColl.num_vgpr, 64
	.set .L_ZN12_GLOBAL__N_17runRingI14__hip_fp8_e4m38FuncProdIS1_E7ProtoLLLi0ELi2ELi0EEEviiP15ncclDevWorkColl.num_agpr, 0
	.set .L_ZN12_GLOBAL__N_17runRingI14__hip_fp8_e4m38FuncProdIS1_E7ProtoLLLi0ELi2ELi0EEEviiP15ncclDevWorkColl.numbered_sgpr, 96
	.set .L_ZN12_GLOBAL__N_17runRingI14__hip_fp8_e4m38FuncProdIS1_E7ProtoLLLi0ELi2ELi0EEEviiP15ncclDevWorkColl.num_named_barrier, 0
	.set .L_ZN12_GLOBAL__N_17runRingI14__hip_fp8_e4m38FuncProdIS1_E7ProtoLLLi0ELi2ELi0EEEviiP15ncclDevWorkColl.private_seg_size, 244
	.set .L_ZN12_GLOBAL__N_17runRingI14__hip_fp8_e4m38FuncProdIS1_E7ProtoLLLi0ELi2ELi0EEEviiP15ncclDevWorkColl.uses_vcc, 1
	.set .L_ZN12_GLOBAL__N_17runRingI14__hip_fp8_e4m38FuncProdIS1_E7ProtoLLLi0ELi2ELi0EEEviiP15ncclDevWorkColl.uses_flat_scratch, 0
	.set .L_ZN12_GLOBAL__N_17runRingI14__hip_fp8_e4m38FuncProdIS1_E7ProtoLLLi0ELi2ELi0EEEviiP15ncclDevWorkColl.has_dyn_sized_stack, 0
	.set .L_ZN12_GLOBAL__N_17runRingI14__hip_fp8_e4m38FuncProdIS1_E7ProtoLLLi0ELi2ELi0EEEviiP15ncclDevWorkColl.has_recursion, 0
	.set .L_ZN12_GLOBAL__N_17runRingI14__hip_fp8_e4m38FuncProdIS1_E7ProtoLLLi0ELi2ELi0EEEviiP15ncclDevWorkColl.has_indirect_call, 0
	.section	.AMDGPU.csdata,"",@progbits
; Function info:
; codeLenInByte = 20948
; TotalNumSgprs: 100
; NumVgprs: 64
; ScratchSize: 244
; MemoryBound: 0
	.text
	.p2align	2                               ; -- Begin function _Z51ncclDevFunc_ReduceScatter_RING_LL_Prod_f8e4m3_0_0_2v
	.type	_Z51ncclDevFunc_ReduceScatter_RING_LL_Prod_f8e4m3_0_0_2v,@function
_Z51ncclDevFunc_ReduceScatter_RING_LL_Prod_f8e4m3_0_0_2v: ; @_Z51ncclDevFunc_ReduceScatter_RING_LL_Prod_f8e4m3_0_0_2v
; %bb.0:
	s_waitcnt vmcnt(0) expcnt(0) lgkmcnt(0)
	s_mov_b32 s4, s33
	s_mov_b32 s33, s32
	s_or_saveexec_b64 s[6:7], -1
	buffer_store_dword v43, off, s[0:3], s33 offset:16 ; 4-byte Folded Spill
	s_mov_b64 exec, s[6:7]
	v_writelane_b32 v43, s4, 15
	s_addk_i32 s32, 0x800
	buffer_store_dword v40, off, s[0:3], s33 offset:12 ; 4-byte Folded Spill
	buffer_store_dword v41, off, s[0:3], s33 offset:8 ; 4-byte Folded Spill
	;; [unrolled: 1-line block ×3, first 2 shown]
	buffer_store_dword v63, off, s[0:3], s33 ; 4-byte Folded Spill
	v_writelane_b32 v43, s34, 0
	v_writelane_b32 v43, s35, 1
	;; [unrolled: 1-line block ×15, first 2 shown]
	s_trap 2
	ds_read_b32 v0, v0
	v_mov_b32_e32 v40, v31
	s_mov_b32 s49, s12
	s_mov_b64 s[50:51], s[8:9]
	s_waitcnt lgkmcnt(0)
	v_cmp_gt_i32_e32 vcc, 1, v0
	s_cbranch_vccnz .LBB3_8
; %bb.1:
	s_mov_b32 s54, 0
	v_and_b32_e32 v41, 0x3ff, v40
	v_mov_b32_e32 v42, 6
	s_branch .LBB3_3
.LBB3_2:                                ;   in Loop: Header=BB3_3 Depth=1
	s_or_b64 exec, exec, s[52:53]
	s_trap 2
	ds_read_b32 v0, v0
	s_add_i32 s54, s54, 1
	s_waitcnt lgkmcnt(0)
	v_cmp_lt_i32_e32 vcc, s54, v0
	s_cbranch_vccz .LBB3_8
.LBB3_3:                                ; =>This Inner Loop Header: Depth=1
	s_trap 2
	ds_read_b32 v0, v0
	s_cmp_eq_u32 s54, 0
	s_cbranch_scc1 .LBB3_6
; %bb.4:                                ;   in Loop: Header=BB3_3 Depth=1
	s_trap 2
	s_waitcnt lgkmcnt(0)
	ds_read_b32 v1, v0
	s_waitcnt lgkmcnt(0)
	v_xor_b32_e32 v1, v1, v0
	v_and_b32_e32 v1, 0xff0000, v1
	v_cmp_eq_u32_e32 vcc, 0, v1
	s_cbranch_vccnz .LBB3_6
; %bb.5:                                ;   in Loop: Header=BB3_3 Depth=1
	s_waitcnt vmcnt(0)
	s_barrier
	ds_read_b32 v0, v0
.LBB3_6:                                ;   in Loop: Header=BB3_3 Depth=1
	s_waitcnt lgkmcnt(0)
	v_lshlrev_b32_sdwa v1, v42, v0 dst_sel:DWORD dst_unused:UNUSED_PAD src0_sel:DWORD src1_sel:BYTE_2
	v_cmp_lt_u32_e32 vcc, v41, v1
	s_and_saveexec_b64 s[52:53], vcc
	s_cbranch_execz .LBB3_2
; %bb.7:                                ;   in Loop: Header=BB3_3 Depth=1
	s_mov_b64 s[4:5], src_shared_base
	s_getpc_b64 s[6:7]
	s_add_u32 s6, s6, _ZN12_GLOBAL__N_17runRingI14__hip_fp8_e4m38FuncProdIS1_E7ProtoLLLi0ELi2ELi0EEEviiP15ncclDevWorkColl@rel32@lo+4
	s_addc_u32 s7, s7, _ZN12_GLOBAL__N_17runRingI14__hip_fp8_e4m38FuncProdIS1_E7ProtoLLLi0ELi2ELi0EEEviiP15ncclDevWorkColl@rel32@hi+12
	s_mov_b64 s[8:9], s[50:51]
	s_mov_b32 s12, s49
	v_mov_b32_e32 v31, v40
	v_mov_b32_e32 v0, v41
	;; [unrolled: 1-line block ×3, first 2 shown]
	s_swappc_b64 s[30:31], s[6:7]
	s_branch .LBB3_2
.LBB3_8:
	buffer_load_dword v63, off, s[0:3], s33 ; 4-byte Folded Reload
	buffer_load_dword v42, off, s[0:3], s33 offset:4 ; 4-byte Folded Reload
	buffer_load_dword v41, off, s[0:3], s33 offset:8 ; 4-byte Folded Reload
	;; [unrolled: 1-line block ×3, first 2 shown]
	v_readlane_b32 s30, v43, 13
	v_readlane_b32 s31, v43, 14
	;; [unrolled: 1-line block ×15, first 2 shown]
	s_mov_b32 s32, s33
	v_readlane_b32 s4, v43, 15
	s_or_saveexec_b64 s[6:7], -1
	buffer_load_dword v43, off, s[0:3], s33 offset:16 ; 4-byte Folded Reload
	s_mov_b64 exec, s[6:7]
	s_mov_b32 s33, s4
	s_waitcnt vmcnt(0)
	s_setpc_b64 s[30:31]
.Lfunc_end3:
	.size	_Z51ncclDevFunc_ReduceScatter_RING_LL_Prod_f8e4m3_0_0_2v, .Lfunc_end3-_Z51ncclDevFunc_ReduceScatter_RING_LL_Prod_f8e4m3_0_0_2v
                                        ; -- End function
	.set .L_Z51ncclDevFunc_ReduceScatter_RING_LL_Prod_f8e4m3_0_0_2v.num_vgpr, max(64, .L_ZN12_GLOBAL__N_17runRingI14__hip_fp8_e4m38FuncProdIS1_E7ProtoLLLi0ELi2ELi0EEEviiP15ncclDevWorkColl.num_vgpr)
	.set .L_Z51ncclDevFunc_ReduceScatter_RING_LL_Prod_f8e4m3_0_0_2v.num_agpr, max(0, .L_ZN12_GLOBAL__N_17runRingI14__hip_fp8_e4m38FuncProdIS1_E7ProtoLLLi0ELi2ELi0EEEviiP15ncclDevWorkColl.num_agpr)
	.set .L_Z51ncclDevFunc_ReduceScatter_RING_LL_Prod_f8e4m3_0_0_2v.numbered_sgpr, max(55, .L_ZN12_GLOBAL__N_17runRingI14__hip_fp8_e4m38FuncProdIS1_E7ProtoLLLi0ELi2ELi0EEEviiP15ncclDevWorkColl.numbered_sgpr)
	.set .L_Z51ncclDevFunc_ReduceScatter_RING_LL_Prod_f8e4m3_0_0_2v.num_named_barrier, max(0, .L_ZN12_GLOBAL__N_17runRingI14__hip_fp8_e4m38FuncProdIS1_E7ProtoLLLi0ELi2ELi0EEEviiP15ncclDevWorkColl.num_named_barrier)
	.set .L_Z51ncclDevFunc_ReduceScatter_RING_LL_Prod_f8e4m3_0_0_2v.private_seg_size, 32+max(.L_ZN12_GLOBAL__N_17runRingI14__hip_fp8_e4m38FuncProdIS1_E7ProtoLLLi0ELi2ELi0EEEviiP15ncclDevWorkColl.private_seg_size)
	.set .L_Z51ncclDevFunc_ReduceScatter_RING_LL_Prod_f8e4m3_0_0_2v.uses_vcc, or(1, .L_ZN12_GLOBAL__N_17runRingI14__hip_fp8_e4m38FuncProdIS1_E7ProtoLLLi0ELi2ELi0EEEviiP15ncclDevWorkColl.uses_vcc)
	.set .L_Z51ncclDevFunc_ReduceScatter_RING_LL_Prod_f8e4m3_0_0_2v.uses_flat_scratch, or(0, .L_ZN12_GLOBAL__N_17runRingI14__hip_fp8_e4m38FuncProdIS1_E7ProtoLLLi0ELi2ELi0EEEviiP15ncclDevWorkColl.uses_flat_scratch)
	.set .L_Z51ncclDevFunc_ReduceScatter_RING_LL_Prod_f8e4m3_0_0_2v.has_dyn_sized_stack, or(0, .L_ZN12_GLOBAL__N_17runRingI14__hip_fp8_e4m38FuncProdIS1_E7ProtoLLLi0ELi2ELi0EEEviiP15ncclDevWorkColl.has_dyn_sized_stack)
	.set .L_Z51ncclDevFunc_ReduceScatter_RING_LL_Prod_f8e4m3_0_0_2v.has_recursion, or(1, .L_ZN12_GLOBAL__N_17runRingI14__hip_fp8_e4m38FuncProdIS1_E7ProtoLLLi0ELi2ELi0EEEviiP15ncclDevWorkColl.has_recursion)
	.set .L_Z51ncclDevFunc_ReduceScatter_RING_LL_Prod_f8e4m3_0_0_2v.has_indirect_call, or(0, .L_ZN12_GLOBAL__N_17runRingI14__hip_fp8_e4m38FuncProdIS1_E7ProtoLLLi0ELi2ELi0EEEviiP15ncclDevWorkColl.has_indirect_call)
	.section	.AMDGPU.csdata,"",@progbits
; Function info:
; codeLenInByte = 624
; TotalNumSgprs: 100
; NumVgprs: 64
; ScratchSize: 276
; MemoryBound: 0
	.text
	.p2align	2                               ; -- Begin function _ZN12_GLOBAL__N_17runRingI14__hip_fp8_e4m38FuncProdIS1_E7ProtoLLLi0ELi4ELi0EEEviiP15ncclDevWorkColl
	.type	_ZN12_GLOBAL__N_17runRingI14__hip_fp8_e4m38FuncProdIS1_E7ProtoLLLi0ELi4ELi0EEEviiP15ncclDevWorkColl,@function
_ZN12_GLOBAL__N_17runRingI14__hip_fp8_e4m38FuncProdIS1_E7ProtoLLLi0ELi4ELi0EEEviiP15ncclDevWorkColl: ; @_ZN12_GLOBAL__N_17runRingI14__hip_fp8_e4m38FuncProdIS1_E7ProtoLLLi0ELi4ELi0EEEviiP15ncclDevWorkColl
; %bb.0:
	s_waitcnt vmcnt(0) expcnt(0) lgkmcnt(0)
	s_or_saveexec_b64 s[4:5], -1
	buffer_store_dword v63, off, s[0:3], s32 offset:236 ; 4-byte Folded Spill
	s_mov_b64 exec, s[4:5]
	buffer_store_dword v40, off, s[0:3], s32 offset:56 ; 4-byte Folded Spill
	buffer_store_dword v41, off, s[0:3], s32 offset:52 ; 4-byte Folded Spill
	buffer_store_dword v42, off, s[0:3], s32 offset:48 ; 4-byte Folded Spill
	buffer_store_dword v43, off, s[0:3], s32 offset:44 ; 4-byte Folded Spill
	buffer_store_dword v44, off, s[0:3], s32 offset:40 ; 4-byte Folded Spill
	buffer_store_dword v45, off, s[0:3], s32 offset:36 ; 4-byte Folded Spill
	buffer_store_dword v46, off, s[0:3], s32 offset:32 ; 4-byte Folded Spill
	buffer_store_dword v47, off, s[0:3], s32 offset:28 ; 4-byte Folded Spill
	buffer_store_dword v56, off, s[0:3], s32 offset:24 ; 4-byte Folded Spill
	buffer_store_dword v57, off, s[0:3], s32 offset:20 ; 4-byte Folded Spill
	buffer_store_dword v58, off, s[0:3], s32 offset:16 ; 4-byte Folded Spill
	buffer_store_dword v59, off, s[0:3], s32 offset:12 ; 4-byte Folded Spill
	buffer_store_dword v60, off, s[0:3], s32 offset:8 ; 4-byte Folded Spill
	buffer_store_dword v61, off, s[0:3], s32 offset:4 ; 4-byte Folded Spill
	buffer_store_dword v62, off, s[0:3], s32 ; 4-byte Folded Spill
	v_writelane_b32 v63, s34, 0
	v_writelane_b32 v63, s35, 1
	;; [unrolled: 1-line block ×9, first 2 shown]
	s_trap 2
	flat_load_dword v7, v[2:3]
	flat_load_dwordx4 v[10:13], v[2:3] offset:72
	flat_load_dwordx2 v[18:19], v[2:3] offset:88
	v_mov_b32_e32 v4, v0
	ds_read_b32 v5, v0
	s_waitcnt lgkmcnt(0)
	v_readfirstlane_b32 s20, v5
	s_waitcnt vmcnt(0)
	v_not_b32_sdwa v6, v7 dst_sel:DWORD dst_unused:UNUSED_PAD src0_sel:BYTE_0
	v_add_u32_sdwa v0, v7, v6 dst_sel:DWORD dst_unused:UNUSED_PAD src0_sel:BYTE_1 src1_sel:DWORD
	v_mul_lo_u32 v9, v13, v0
	v_mad_u64_u32 v[20:21], s[4:5], v12, v0, 0
	buffer_store_dword v10, off, s[0:3], s32 offset:116 ; 4-byte Folded Spill
	s_nop 0
	buffer_store_dword v11, off, s[0:3], s32 offset:120 ; 4-byte Folded Spill
	buffer_store_dword v12, off, s[0:3], s32 offset:124 ; 4-byte Folded Spill
	;; [unrolled: 1-line block ×3, first 2 shown]
	v_ashrrev_i32_e32 v8, 31, v0
	v_cmp_ne_u32_sdwa s[4:5], v5, v7 src0_sel:DWORD src1_sel:BYTE_0
	v_mul_lo_u32 v0, v12, v8
	ds_read_b64 v[24:25], v0
	v_add3_u32 v0, v21, v0, v9
                                        ; implicit-def: $vgpr21_vgpr22
                                        ; implicit-def: $vgpr8_vgpr9
                                        ; kill: killed $vgpr8_vgpr9
	s_and_saveexec_b64 s[6:7], s[4:5]
	s_xor_b64 s[4:5], exec, s[6:7]
	s_cbranch_execz .LBB4_6
; %bb.1:
	v_cmp_ne_u32_sdwa s[6:7], v5, v7 src0_sel:DWORD src1_sel:BYTE_1
                                        ; implicit-def: $vgpr21_vgpr22
                                        ; implicit-def: $vgpr7_vgpr8
                                        ; kill: killed $vgpr7_vgpr8
	s_and_saveexec_b64 s[10:11], s[6:7]
	s_xor_b64 s[6:7], exec, s[10:11]
	s_cbranch_execz .LBB4_3
; %bb.2:
	flat_load_dwordx2 v[7:8], v[2:3] offset:96
	buffer_load_dword v10, off, s[0:3], s32 offset:116 ; 4-byte Folded Reload
	buffer_load_dword v11, off, s[0:3], s32 offset:120 ; 4-byte Folded Reload
	;; [unrolled: 1-line block ×4, first 2 shown]
	v_add_u32_e32 v5, v5, v6
	v_ashrrev_i32_e32 v6, 31, v5
	s_waitcnt vmcnt(0)
	v_mul_lo_u32 v6, v12, v6
	v_mul_lo_u32 v9, v13, v5
	v_mad_u64_u32 v[10:11], s[10:11], v12, v5, v[10:11]
	s_waitcnt lgkmcnt(0)
	v_lshrrev_b64 v[21:22], 17, v[7:8]
	v_add3_u32 v11, v9, v11, v6
	buffer_store_dword v10, off, s[0:3], s32 offset:132 ; 4-byte Folded Spill
	s_nop 0
	buffer_store_dword v11, off, s[0:3], s32 offset:136 ; 4-byte Folded Spill
.LBB4_3:
	s_andn2_saveexec_b64 s[6:7], s[6:7]
	s_cbranch_execz .LBB4_5
; %bb.4:
	flat_load_dword v5, v[2:3] offset:100
	buffer_load_dword v6, off, s[0:3], s32 offset:116 ; 4-byte Folded Reload
	buffer_load_dword v7, off, s[0:3], s32 offset:120 ; 4-byte Folded Reload
	;; [unrolled: 1-line block ×4, first 2 shown]
	s_waitcnt vmcnt(0)
	v_add_co_u32_e32 v8, vcc, v20, v6
	v_addc_co_u32_e32 v9, vcc, v0, v7, vcc
	buffer_store_dword v8, off, s[0:3], s32 offset:132 ; 4-byte Folded Spill
	s_nop 0
	buffer_store_dword v9, off, s[0:3], s32 offset:136 ; 4-byte Folded Spill
	v_mov_b32_e32 v8, v18
	s_waitcnt lgkmcnt(0)
	v_lshrrev_b32_e32 v21, 6, v5
	v_mov_b32_e32 v9, v19
	buffer_store_dword v6, off, s[0:3], s32 offset:116 ; 4-byte Folded Spill
	s_nop 0
	buffer_store_dword v7, off, s[0:3], s32 offset:120 ; 4-byte Folded Spill
	buffer_store_dword v8, off, s[0:3], s32 offset:124 ; 4-byte Folded Spill
	;; [unrolled: 1-line block ×3, first 2 shown]
.LBB4_5:
	s_or_b64 exec, exec, s[6:7]
.LBB4_6:
	s_andn2_saveexec_b64 s[4:5], s[4:5]
	s_cbranch_execz .LBB4_8
; %bb.7:
	flat_load_dwordx2 v[5:6], v[2:3] offset:96
	s_waitcnt vmcnt(0) lgkmcnt(0)
	v_lshlrev_b64 v[21:22], 4, v[5:6]
	v_mov_b32_e32 v5, 0
	v_mov_b32_e32 v6, 0
	buffer_store_dword v5, off, s[0:3], s32 offset:132 ; 4-byte Folded Spill
	s_nop 0
	buffer_store_dword v6, off, s[0:3], s32 offset:136 ; 4-byte Folded Spill
	buffer_load_dword v5, off, s[0:3], s32 offset:116 ; 4-byte Folded Reload
	s_nop 0
	buffer_load_dword v6, off, s[0:3], s32 offset:120 ; 4-byte Folded Reload
	buffer_load_dword v7, off, s[0:3], s32 offset:124 ; 4-byte Folded Reload
	;; [unrolled: 1-line block ×3, first 2 shown]
	s_waitcnt vmcnt(0)
	v_mov_b32_e32 v8, v6
	v_mov_b32_e32 v7, v5
	buffer_store_dword v5, off, s[0:3], s32 offset:116 ; 4-byte Folded Spill
	s_nop 0
	buffer_store_dword v6, off, s[0:3], s32 offset:120 ; 4-byte Folded Spill
	buffer_store_dword v7, off, s[0:3], s32 offset:124 ; 4-byte Folded Spill
	;; [unrolled: 1-line block ×3, first 2 shown]
.LBB4_8:
	s_or_b64 exec, exec, s[4:5]
	flat_load_dwordx4 v[5:8], v[2:3] offset:16
	v_mov_b32_e32 v26, 0
	s_mov_b32 s6, 0
	v_mov_b32_e32 v27, 0
	s_waitcnt vmcnt(0) lgkmcnt(0)
	buffer_store_dword v5, off, s[0:3], s32 offset:168 ; 4-byte Folded Spill
	s_nop 0
	buffer_store_dword v6, off, s[0:3], s32 offset:172 ; 4-byte Folded Spill
	buffer_store_dword v7, off, s[0:3], s32 offset:176 ; 4-byte Folded Spill
	;; [unrolled: 1-line block ×3, first 2 shown]
	flat_load_ushort v6, v[2:3] offset:8
	s_nop 0
	flat_load_dword v5, v[2:3] offset:4
	s_load_dword s4, s[8:9], 0x0
	s_waitcnt lgkmcnt(0)
	s_cmp_lt_u32 s12, s4
	s_cselect_b32 s4, 12, 18
	s_add_u32 s4, s8, s4
	s_addc_u32 s5, s9, 0
	s_waitcnt vmcnt(0)
	v_lshrrev_b64 v[2:3], 31, v[5:6]
	v_mov_b32_e32 v3, 0
	global_load_ushort v12, v3, s[4:5]
	v_ashrrev_i32_e32 v5, 31, v4
	v_and_b32_e32 v7, 3, v2
	v_lshrrev_b32_e32 v2, 26, v5
	v_add_u32_e32 v2, v4, v2
	v_and_b32_e32 v2, 0xffffffc0, v2
	v_sub_u32_e32 v6, v4, v2
	s_trap 2
	ds_read_b32 v2, v0
	v_cmp_eq_u32_e64 s[4:5], 0, v6
	s_waitcnt lgkmcnt(0)
	v_cmp_gt_i32_e32 vcc, 0, v2
	v_readfirstlane_b32 s8, v2
	s_cbranch_vccnz .LBB4_10
; %bb.9:
	s_trap 2
	ds_read_b64 v[8:9], v0
	v_lshlrev_b64 v[2:3], 3, v[2:3]
	s_movk_i32 s6, 0xa8
	s_waitcnt lgkmcnt(0)
	v_add_co_u32_e32 v2, vcc, v8, v2
	v_addc_co_u32_e32 v3, vcc, v9, v3, vcc
	flat_load_dwordx2 v[2:3], v[2:3]
	v_and_b32_e32 v8, 0xffff, v7
	s_waitcnt vmcnt(0) lgkmcnt(0)
	v_mad_u64_u32 v[2:3], s[6:7], v8, s6, v[2:3]
	s_mov_b32 s6, 1
	flat_load_dwordx2 v[8:9], v[2:3] offset:504
	v_add_co_u32_e32 v28, vcc, 0x1f8, v2
	v_addc_co_u32_e32 v29, vcc, 0, v3, vcc
	s_waitcnt vmcnt(0) lgkmcnt(0)
	buffer_store_dword v8, off, s[0:3], s32 offset:76 ; 4-byte Folded Spill
	s_nop 0
	buffer_store_dword v9, off, s[0:3], s32 offset:80 ; 4-byte Folded Spill
	flat_load_dwordx2 v[36:37], v[2:3] offset:608
	v_cndmask_b32_e64 v3, 0, v29, s[4:5]
	v_cndmask_b32_e64 v2, 0, v28, s[4:5]
	s_branch .LBB4_11
.LBB4_10:
	v_mov_b32_e32 v28, 0
	v_mov_b32_e32 v2, 0
	;; [unrolled: 1-line block ×4, first 2 shown]
                                        ; implicit-def: $vgpr36_vgpr37
                                        ; implicit-def: $vgpr8_vgpr9
                                        ; kill: killed $vgpr8_vgpr9
.LBB4_11:
	s_trap 2
	ds_read_b32 v14, v0
	s_waitcnt lgkmcnt(0)
	v_cmp_gt_i32_e32 vcc, 0, v14
	s_cbranch_vccnz .LBB4_13
; %bb.12:
	s_trap 2
	ds_read_b64 v[8:9], v0
	v_mov_b32_e32 v15, 0
	v_lshlrev_b64 v[10:11], 3, v[14:15]
	v_and_b32_e32 v7, 0xffff, v7
	s_movk_i32 s4, 0xa8
	s_waitcnt lgkmcnt(0)
	v_add_co_u32_e32 v8, vcc, v8, v10
	v_addc_co_u32_e32 v9, vcc, v9, v11, vcc
	flat_load_dwordx2 v[8:9], v[8:9]
	v_cmp_eq_u32_e32 vcc, 0, v6
	s_waitcnt vmcnt(0) lgkmcnt(0)
	v_mad_u64_u32 v[26:27], s[4:5], v7, s4, v[8:9]
	flat_load_dwordx2 v[38:39], v[26:27]
	flat_load_dwordx2 v[22:23], v[26:27] offset:104
	v_cndmask_b32_e32 v17, 0, v27, vcc
	v_cndmask_b32_e32 v16, 0, v26, vcc
	s_branch .LBB4_14
.LBB4_13:
	v_mov_b32_e32 v16, 0
	v_mov_b32_e32 v17, 0
                                        ; implicit-def: $vgpr22_vgpr23
                                        ; implicit-def: $vgpr38_vgpr39
.LBB4_14:
	v_subrev_u32_e32 v7, 64, v1
	v_cmp_ge_i32_e32 vcc, v4, v7
	v_cmp_gt_i32_e64 s[4:5], s6, v6
	v_mov_b32_e32 v14, 0
	v_mov_b32_e32 v6, 0
	;; [unrolled: 1-line block ×4, first 2 shown]
	s_and_b64 s[22:23], vcc, s[4:5]
	buffer_store_dword v6, off, s[0:3], s32 offset:68 ; 4-byte Folded Spill
	s_nop 0
	buffer_store_dword v7, off, s[0:3], s32 offset:72 ; 4-byte Folded Spill
                                        ; implicit-def: $vgpr48_vgpr49
	s_and_saveexec_b64 s[4:5], s[22:23]
	s_cbranch_execz .LBB4_16
; %bb.15:
	flat_load_dwordx2 v[6:7], v[2:3] offset:56
	s_waitcnt vmcnt(0) lgkmcnt(0)
	buffer_store_dword v6, off, s[0:3], s32 offset:68 ; 4-byte Folded Spill
	s_nop 0
	buffer_store_dword v7, off, s[0:3], s32 offset:72 ; 4-byte Folded Spill
	flat_load_dwordx2 v[48:49], v[2:3] offset:104
.LBB4_16:
	s_or_b64 exec, exec, s[4:5]
	v_mov_b32_e32 v52, 0
	v_mov_b32_e32 v53, 0
	v_cmp_gt_i32_e64 s[4:5], s6, v4
                                        ; implicit-def: $vgpr54_vgpr55
	s_and_saveexec_b64 s[6:7], s[4:5]
	s_cbranch_execz .LBB4_18
; %bb.17:
	flat_load_dwordx2 v[52:53], v[16:17] offset:56
	s_waitcnt vmcnt(0) lgkmcnt(0)
	flat_load_dwordx2 v[54:55], v[52:53] glc
	s_waitcnt vmcnt(0)
	flat_load_dwordx4 v[14:17], v[16:17] offset:96
.LBB4_18:
	s_or_b64 exec, exec, s[6:7]
	buffer_load_dword v8, off, s[0:3], s32 offset:116 ; 4-byte Folded Reload
	buffer_load_dword v9, off, s[0:3], s32 offset:120 ; 4-byte Folded Reload
	;; [unrolled: 1-line block ×4, first 2 shown]
	v_mov_b32_e32 v2, 0
	v_mov_b32_e32 v3, 0
	s_waitcnt vmcnt(0)
	v_cmp_ne_u64_e32 vcc, 0, v[10:11]
	s_and_saveexec_b64 s[24:25], vcc
	s_cbranch_execz .LBB4_658
; %bb.19:
	v_add_co_u32_e32 v2, vcc, v18, v8
	s_ashr_i32 s6, s8, 31
	v_addc_co_u32_e32 v3, vcc, v19, v9, vcc
	s_lshr_b32 s6, s6, 29
	v_add_co_u32_e32 v2, vcc, v2, v20
	s_ashr_i32 s21, s20, 31
	s_add_i32 s8, s8, s6
	v_addc_co_u32_e32 v0, vcc, v3, v0, vcc
	s_lshl_b64 s[6:7], s[20:21], 2
	buffer_store_dword v28, off, s[0:3], s32 offset:228 ; 4-byte Folded Spill
	s_nop 0
	buffer_store_dword v29, off, s[0:3], s32 offset:232 ; 4-byte Folded Spill
	buffer_store_dword v26, off, s[0:3], s32 offset:220 ; 4-byte Folded Spill
	s_nop 0
	buffer_store_dword v27, off, s[0:3], s32 offset:224 ; 4-byte Folded Spill
	buffer_store_dword v2, off, s[0:3], s32 offset:60 ; 4-byte Folded Spill
	;; [unrolled: 1-line block ×3, first 2 shown]
	v_mov_b32_e32 v0, s7
	v_add_co_u32_e32 v2, vcc, s6, v24
	v_addc_co_u32_e32 v0, vcc, v25, v0, vcc
	v_add_co_u32_e32 v2, vcc, -4, v2
	v_addc_co_u32_e32 v3, vcc, -1, v0, vcc
	v_and_b32_e32 v0, 63, v31
	v_cmp_eq_u32_e64 s[12:13], 0, v0
	v_lshrrev_b32_e32 v0, 6, v1
	buffer_store_dword v2, off, s[0:3], s32 offset:148 ; 4-byte Folded Spill
	s_nop 0
	buffer_store_dword v3, off, s[0:3], s32 offset:152 ; 4-byte Folded Spill
	buffer_store_dword v12, off, s[0:3], s32 offset:216 ; 4-byte Folded Spill
	;; [unrolled: 1-line block ×4, first 2 shown]
	buffer_load_dword v6, off, s[0:3], s32 offset:168 ; 4-byte Folded Reload
	buffer_load_dword v7, off, s[0:3], s32 offset:172 ; 4-byte Folded Reload
	;; [unrolled: 1-line block ×4, first 2 shown]
	v_cmp_ne_u32_sdwa s[40:41], v1, v12 src0_sel:DWORD src1_sel:WORD_0
	v_lshlrev_b32_e32 v12, 3, v4
	v_ashrrev_i32_e32 v18, 31, v12
	v_mov_b32_e32 v43, 0
	s_ashr_i32 s10, s8, 3
	s_ashr_i32 s34, s8, 7
	s_and_b32 s21, s10, -16
	v_cmp_ne_u64_e64 s[6:7], 0, v[52:53]
	s_waitcnt lgkmcnt(0)
	v_cmp_ne_u64_e64 s[8:9], 0, v[14:15]
	s_cmp_gt_i32 s20, 2
	v_mov_b32_e32 v50, 0
	v_and_b32_e32 v28, 0x1fffff0, v21
	s_mov_b32 s27, 0
	v_mov_b32_e32 v29, v43
	s_mov_b64 s[28:29], 0
	v_cmp_ne_u32_e64 s[10:11], 64, v1
	v_lshlrev_b32_e32 v13, 3, v1
	s_cselect_b64 s[42:43], -1, 0
	v_lshlrev_b32_e32 v34, 6, v1
	v_mov_b32_e32 v51, 0
	s_mov_b64 s[44:45], 0x7ffffff8
	s_movk_i32 s35, 0xff
	s_movk_i32 s36, 0x80
	;; [unrolled: 1-line block ×3, first 2 shown]
	s_mov_b64 s[46:47], 0x7f800000
	s_mov_b64 s[56:57], 0x43e00001
	s_movk_i32 s38, 0x7a
	s_mov_b64 s[58:59], 0xffffff
	s_mov_b32 s39, 0xffffff
	v_bfrev_b32_e32 v27, 60
	v_mov_b32_e32 v40, 0
	s_waitcnt vmcnt(1)
	v_add_co_u32_e32 v0, vcc, v8, v12
	buffer_store_dword v0, off, s[0:3], s32 offset:188 ; 4-byte Folded Spill
	s_waitcnt vmcnt(1)
	v_addc_co_u32_e32 v0, vcc, v9, v18, vcc
	buffer_store_dword v0, off, s[0:3], s32 offset:192 ; 4-byte Folded Spill
	buffer_load_dword v2, off, s[0:3], s32 offset:68 ; 4-byte Folded Reload
	buffer_load_dword v3, off, s[0:3], s32 offset:72 ; 4-byte Folded Reload
	v_add_co_u32_e32 v0, vcc, v6, v12
	buffer_store_dword v0, off, s[0:3], s32 offset:196 ; 4-byte Folded Spill
	v_addc_co_u32_e32 v0, vcc, v7, v18, vcc
	buffer_store_dword v0, off, s[0:3], s32 offset:200 ; 4-byte Folded Spill
	s_waitcnt vmcnt(2)
	v_cmp_ne_u64_e64 s[14:15], 0, v[2:3]
	buffer_load_dword v2, off, s[0:3], s32 offset:132 ; 4-byte Folded Reload
	buffer_load_dword v3, off, s[0:3], s32 offset:136 ; 4-byte Folded Reload
	s_waitcnt vmcnt(1)
	v_add_co_u32_e32 v0, vcc, v2, v8
	s_waitcnt vmcnt(0)
	v_addc_co_u32_e32 v2, vcc, v3, v9, vcc
	v_add_co_u32_e32 v61, vcc, v0, v12
	v_addc_co_u32_e32 v62, vcc, v2, v18, vcc
	v_lshlrev_b64 v[2:3], 4, v[4:5]
	v_mov_b32_e32 v5, 0x78
	v_add_co_u32_e32 v0, vcc, v38, v2
	v_mov_b32_e32 v2, v43
	buffer_store_dword v0, off, s[0:3], s32 offset:204 ; 4-byte Folded Spill
	v_addc_co_u32_e32 v0, vcc, v39, v3, vcc
	v_lshlrev_b64 v[44:45], 4, v[1:2]
	v_mov_b32_e32 v2, 0
	v_mov_b32_e32 v3, 0
	;; [unrolled: 1-line block ×4, first 2 shown]
	buffer_store_dword v18, off, s[0:3], s32 offset:184 ; 4-byte Folded Spill
	buffer_store_dword v0, off, s[0:3], s32 offset:208 ; 4-byte Folded Spill
	;; [unrolled: 1-line block ×4, first 2 shown]
	s_nop 0
	buffer_store_dword v29, off, s[0:3], s32 offset:144 ; 4-byte Folded Spill
	s_branch .LBB4_21
.LBB4_20:                               ;   in Loop: Header=BB4_21 Depth=1
	s_or_b64 exec, exec, s[16:17]
	v_add_co_u32_e32 v36, vcc, 1, v36
	v_addc_co_u32_e32 v37, vcc, 0, v37, vcc
	v_add_co_u32_e32 v50, vcc, v50, v28
	v_addc_co_u32_e32 v51, vcc, 0, v51, vcc
	;; [unrolled: 2-line block ×3, first 2 shown]
	v_cmp_ge_u64_e32 vcc, v[50:51], v[10:11]
	s_or_b64 s[28:29], vcc, s[28:29]
	s_andn2_b64 exec, exec, s[28:29]
	s_cbranch_execz .LBB4_657
.LBB4_21:                               ; =>This Loop Header: Depth=1
                                        ;     Child Loop BB4_26 Depth 2
                                        ;     Child Loop BB4_45 Depth 2
	;; [unrolled: 1-line block ×5, first 2 shown]
                                        ;       Child Loop BB4_75 Depth 3
                                        ;       Child Loop BB4_94 Depth 3
                                        ;       Child Loop BB4_108 Depth 3
                                        ;         Child Loop BB4_116 Depth 4
                                        ;       Child Loop BB4_356 Depth 3
                                        ;       Child Loop BB4_365 Depth 3
                                        ;     Child Loop BB4_377 Depth 2
                                        ;       Child Loop BB4_385 Depth 3
                                        ;     Child Loop BB4_644 Depth 2
	buffer_load_dword v6, off, s[0:3], s32 offset:148 ; 4-byte Folded Reload
	buffer_load_dword v7, off, s[0:3], s32 offset:152 ; 4-byte Folded Reload
	s_waitcnt vmcnt(0) lgkmcnt(0)
	flat_load_dword v0, v[6:7]
	v_sub_co_u32_e32 v6, vcc, v10, v50
	v_subb_co_u32_e32 v7, vcc, v11, v51, vcc
	v_cmp_lt_u64_e32 vcc, v[28:29], v[6:7]
	v_cndmask_b32_e32 v7, v6, v28, vcc
	v_lshl_add_u32 v6, v7, 1, 14
	v_and_b32_e32 v6, 0x7fffff0, v6
	buffer_store_dword v6, off, s[0:3], s32 offset:92 ; 4-byte Folded Spill
	s_and_saveexec_b64 s[18:19], s[6:7]
	s_cbranch_execz .LBB4_37
; %bb.22:                               ;   in Loop: Header=BB4_21 Depth=1
	v_add_co_u32_e32 v18, vcc, 1, v16
	v_addc_co_u32_e32 v19, vcc, 0, v17, vcc
	v_add_co_u32_e32 v10, vcc, 8, v54
	v_addc_co_u32_e32 v11, vcc, 0, v55, vcc
	v_cmp_lt_u64_e32 vcc, v[10:11], v[18:19]
	s_and_saveexec_b64 s[60:61], vcc
	s_cbranch_execz .LBB4_34
; %bb.23:                               ;   in Loop: Header=BB4_21 Depth=1
	s_mov_b32 s26, 0
	v_cmp_eq_u32_e32 vcc, 0, v40
	s_mov_b64 s[62:63], 0
                                        ; implicit-def: $sgpr72_sgpr73
                                        ; implicit-def: $sgpr74_sgpr75
                                        ; implicit-def: $sgpr76_sgpr77
	s_branch .LBB4_26
.LBB4_24:                               ;   in Loop: Header=BB4_26 Depth=2
	s_or_b64 exec, exec, s[94:95]
	s_andn2_b64 s[16:17], s[76:77], exec
	s_and_b64 s[76:77], s[90:91], exec
	s_or_b64 s[76:77], s[16:17], s[76:77]
	s_andn2_b64 s[16:17], s[74:75], exec
	s_and_b64 s[74:75], s[88:89], exec
	v_mov_b32_e32 v11, 0
	s_or_b64 s[74:75], s[16:17], s[74:75]
.LBB4_25:                               ;   in Loop: Header=BB4_26 Depth=2
	s_or_b64 exec, exec, s[78:79]
	s_and_b64 s[16:17], exec, s[74:75]
	s_or_b64 s[62:63], s[16:17], s[62:63]
	s_andn2_b64 s[16:17], s[72:73], exec
	s_and_b64 s[72:73], s[76:77], exec
	s_or_b64 s[72:73], s[16:17], s[72:73]
	s_andn2_b64 exec, exec, s[62:63]
	s_cbranch_execz .LBB4_31
.LBB4_26:                               ;   Parent Loop BB4_21 Depth=1
                                        ; =>  This Inner Loop Header: Depth=2
	s_sleep 1
	s_waitcnt vmcnt(0) lgkmcnt(0)
	flat_load_dwordx2 v[54:55], v[52:53] glc
	s_or_b64 s[76:77], s[76:77], exec
	s_or_b64 s[74:75], s[74:75], exec
	v_mov_b32_e32 v11, v40
                                        ; implicit-def: $vgpr10
	s_and_saveexec_b64 s[78:79], vcc
	s_cbranch_execz .LBB4_25
; %bb.27:                               ;   in Loop: Header=BB4_26 Depth=2
	s_add_i32 s26, s26, 1
	s_cmpk_lg_i32 s26, 0x2710
	s_cselect_b64 s[92:93], -1, 0
	s_cmpk_eq_i32 s26, 0x2710
	s_mov_b64 s[88:89], -1
	s_mov_b64 s[90:91], -1
                                        ; implicit-def: $vgpr10
	s_cbranch_scc1 .LBB4_29
; %bb.28:                               ;   in Loop: Header=BB4_26 Depth=2
	s_and_saveexec_b64 s[94:95], s[92:93]
	s_cbranch_execz .LBB4_24
	s_branch .LBB4_30
.LBB4_29:                               ;   in Loop: Header=BB4_26 Depth=2
	s_trap 2
	s_waitcnt vmcnt(0) lgkmcnt(0)
	ds_read_b64 v[10:11], v0
	s_andn2_b64 s[92:93], s[92:93], exec
	s_mov_b32 s26, 0
	s_mov_b64 s[90:91], 0
	s_waitcnt lgkmcnt(0)
	flat_load_dword v10, v[10:11] glc
	s_waitcnt vmcnt(0) lgkmcnt(0)
	buffer_wbinvl1_vol
	v_cmp_eq_u32_e64 s[16:17], 0, v10
	s_and_b64 s[16:17], s[16:17], exec
	s_or_b64 s[92:93], s[92:93], s[16:17]
	s_and_saveexec_b64 s[94:95], s[92:93]
	s_cbranch_execz .LBB4_24
.LBB4_30:                               ;   in Loop: Header=BB4_26 Depth=2
	s_waitcnt vmcnt(0) lgkmcnt(0)
	v_add_co_u32_e64 v11, s[16:17], 8, v54
	v_addc_co_u32_e64 v12, s[16:17], 0, v55, s[16:17]
	v_cmp_ge_u64_e64 s[16:17], v[11:12], v[18:19]
	s_or_b64 s[90:91], s[90:91], exec
	s_orn2_b64 s[88:89], s[16:17], exec
	s_branch .LBB4_24
.LBB4_31:                               ;   in Loop: Header=BB4_21 Depth=1
	s_or_b64 exec, exec, s[62:63]
	s_xor_b64 s[16:17], s[72:73], -1
	s_and_saveexec_b64 s[62:63], s[16:17]
	s_xor_b64 s[16:17], exec, s[62:63]
	s_cbranch_execz .LBB4_33
; %bb.32:                               ;   in Loop: Header=BB4_21 Depth=1
	v_mov_b32_e32 v11, 1
	s_waitcnt vmcnt(0) lgkmcnt(0)
	ds_write_b32 v0, v10
	s_trap 2
.LBB4_33:                               ;   in Loop: Header=BB4_21 Depth=1
	s_or_b64 exec, exec, s[16:17]
	v_mov_b32_e32 v40, v11
.LBB4_34:                               ;   in Loop: Header=BB4_21 Depth=1
	s_or_b64 exec, exec, s[60:61]
	s_and_saveexec_b64 s[16:17], s[8:9]
	s_cbranch_execz .LBB4_36
; %bb.35:                               ;   in Loop: Header=BB4_21 Depth=1
	buffer_load_dword v12, off, s[0:3], s32 offset:92 ; 4-byte Folded Reload
	v_and_b32_e32 v42, 0x7ffffff8, v16
	v_and_b32_e32 v6, 7, v16
	v_mad_u64_u32 v[10:11], s[60:61], v6, 24, v[14:15]
	v_cmp_eq_u64_e32 vcc, s[44:45], v[42:43]
	v_mov_b32_e32 v6, s21
	s_waitcnt vmcnt(0)
	v_cndmask_b32_e32 v16, v12, v6, vcc
	v_ashrrev_i32_e32 v17, 31, v16
	flat_store_dwordx2 v[10:11], v[16:17] offset:8
	s_waitcnt vmcnt(0)
.LBB4_36:                               ;   in Loop: Header=BB4_21 Depth=1
	s_or_b64 exec, exec, s[16:17]
	v_mov_b32_e32 v16, v18
	v_mov_b32_e32 v17, v19
.LBB4_37:                               ;   in Loop: Header=BB4_21 Depth=1
	s_or_b64 exec, exec, s[18:19]
	s_and_saveexec_b64 s[16:17], s[10:11]
	s_cbranch_execz .LBB4_56
; %bb.38:                               ;   in Loop: Header=BB4_21 Depth=1
	s_and_saveexec_b64 s[18:19], s[40:41]
	s_xor_b64 s[18:19], exec, s[18:19]
	s_cbranch_execz .LBB4_53
; %bb.39:                               ;   in Loop: Header=BB4_21 Depth=1
	s_and_saveexec_b64 s[60:61], s[12:13]
	s_cbranch_execz .LBB4_52
; %bb.40:                               ;   in Loop: Header=BB4_21 Depth=1
	s_mov_b64 s[72:73], exec
	v_mbcnt_lo_u32_b32 v6, s72, 0
	v_mbcnt_hi_u32_b32 v6, s73, v6
	v_cmp_eq_u32_e32 vcc, 0, v6
	s_waitcnt vmcnt(0) lgkmcnt(0)
	buffer_wbinvl1_vol
	s_and_saveexec_b64 s[62:63], vcc
	s_cbranch_execz .LBB4_42
; %bb.41:                               ;   in Loop: Header=BB4_21 Depth=1
	s_bcnt1_i32_b64 s26, s[72:73]
	v_mov_b32_e32 v42, s26
	ds_add_u64 v0, v[42:43]
	s_trap 2
.LBB4_42:                               ;   in Loop: Header=BB4_21 Depth=1
	s_or_b64 exec, exec, s[62:63]
	s_trap 2
	ds_read_b64 v[10:11], v0
	s_waitcnt lgkmcnt(0)
	buffer_load_dword v6, off, s[0:3], s32 offset:96 ; 4-byte Folded Reload
	s_waitcnt vmcnt(0)
	v_add_co_u32_e32 v2, vcc, v2, v6
	v_addc_co_u32_e32 v3, vcc, 0, v3, vcc
	v_cmp_lt_u64_e32 vcc, v[10:11], v[2:3]
	s_and_saveexec_b64 s[62:63], vcc
	s_cbranch_execz .LBB4_51
; %bb.43:                               ;   in Loop: Header=BB4_21 Depth=1
	s_mov_b32 s26, 0
	s_mov_b64 s[72:73], 0
                                        ; implicit-def: $sgpr74_sgpr75
                                        ; implicit-def: $sgpr76_sgpr77
	s_branch .LBB4_45
.LBB4_44:                               ;   in Loop: Header=BB4_45 Depth=2
	s_or_b64 exec, exec, s[88:89]
	s_and_b64 s[78:79], exec, s[90:91]
	s_or_b64 s[72:73], s[78:79], s[72:73]
	s_andn2_b64 s[74:75], s[74:75], exec
	s_and_b64 s[78:79], s[76:77], exec
	s_or_b64 s[74:75], s[74:75], s[78:79]
	s_andn2_b64 exec, exec, s[72:73]
	s_cbranch_execz .LBB4_49
.LBB4_45:                               ;   Parent Loop BB4_21 Depth=1
                                        ; =>  This Inner Loop Header: Depth=2
	s_add_i32 s26, s26, 1
	s_cmpk_lg_i32 s26, 0x2710
	s_cselect_b64 s[78:79], -1, 0
	s_and_b64 vcc, exec, s[78:79]
	s_cbranch_vccz .LBB4_47
; %bb.46:                               ;   in Loop: Header=BB4_45 Depth=2
	s_mov_b64 s[90:91], -1
	s_or_b64 s[76:77], s[76:77], exec
	s_and_saveexec_b64 s[88:89], s[78:79]
	s_cbranch_execz .LBB4_44
	s_branch .LBB4_48
.LBB4_47:                               ;   in Loop: Header=BB4_45 Depth=2
	s_trap 2
	ds_read_b64 v[10:11], v0
	s_andn2_b64 s[78:79], s[78:79], exec
	s_mov_b32 s26, 0
	s_waitcnt lgkmcnt(0)
	flat_load_dword v6, v[10:11] glc
	s_waitcnt vmcnt(0) lgkmcnt(0)
	buffer_wbinvl1_vol
	v_cmp_eq_u32_e32 vcc, 0, v6
	s_and_b64 s[88:89], vcc, exec
	s_or_b64 s[78:79], s[78:79], s[88:89]
	s_mov_b64 s[90:91], -1
	s_or_b64 s[76:77], s[76:77], exec
	s_and_saveexec_b64 s[88:89], s[78:79]
	s_cbranch_execz .LBB4_44
.LBB4_48:                               ;   in Loop: Header=BB4_45 Depth=2
	s_sleep 1
	s_trap 2
	ds_read_b64 v[10:11], v0
	s_waitcnt lgkmcnt(0)
	s_andn2_b64 s[76:77], s[76:77], exec
	v_cmp_ge_u64_e32 vcc, v[10:11], v[2:3]
	s_orn2_b64 s[90:91], vcc, exec
	s_branch .LBB4_44
.LBB4_49:                               ;   in Loop: Header=BB4_21 Depth=1
	s_or_b64 exec, exec, s[72:73]
	s_and_saveexec_b64 s[72:73], s[74:75]
	s_xor_b64 s[72:73], exec, s[72:73]
	s_cbranch_execz .LBB4_51
; %bb.50:                               ;   in Loop: Header=BB4_21 Depth=1
	v_mov_b32_e32 v6, 1
	ds_write_b32 v0, v6
	s_trap 2
.LBB4_51:                               ;   in Loop: Header=BB4_21 Depth=1
	s_or_b64 exec, exec, s[62:63]
	;;#ASMSTART
	s_wakeup
	;;#ASMEND
.LBB4_52:                               ;   in Loop: Header=BB4_21 Depth=1
	s_or_b64 exec, exec, s[60:61]
.LBB4_53:                               ;   in Loop: Header=BB4_21 Depth=1
	s_andn2_saveexec_b64 s[18:19], s[18:19]
	s_cbranch_execz .LBB4_55
; %bb.54:                               ;   in Loop: Header=BB4_21 Depth=1
	s_waitcnt vmcnt(0) lgkmcnt(0)
	buffer_wbinvl1_vol
	s_barrier
.LBB4_55:                               ;   in Loop: Header=BB4_21 Depth=1
	s_or_b64 exec, exec, s[18:19]
.LBB4_56:                               ;   in Loop: Header=BB4_21 Depth=1
	s_or_b64 exec, exec, s[16:17]
	v_lshlrev_b32_e32 v6, 3, v4
	v_sub_u32_e32 v26, v7, v6
	v_cmp_lt_i32_e64 s[16:17], 0, v26
	v_and_b32_e32 v7, 7, v22
	v_add_u32_e32 v19, 1, v22
	v_mov_b32_e32 v32, v4
	s_and_saveexec_b64 s[18:19], s[16:17]
	s_cbranch_execz .LBB4_64
; %bb.57:                               ;   in Loop: Header=BB4_21 Depth=1
	buffer_load_dword v11, off, s[0:3], s32 offset:60 ; 4-byte Folded Reload
	buffer_load_dword v12, off, s[0:3], s32 offset:64 ; 4-byte Folded Reload
	s_waitcnt vmcnt(0) lgkmcnt(0)
	v_ashrrev_i32_e32 v6, 31, v0
	v_mul_lo_u32 v10, v7, s34
	v_mov_b32_e32 v32, v4
	v_mad_u64_u32 v[30:31], s[60:61], v11, v0, v[61:62]
	v_mul_lo_u32 v12, v12, v0
	v_mul_lo_u32 v6, v11, v6
	;; [unrolled: 1-line block ×3, first 2 shown]
	v_ashrrev_i32_e32 v11, 31, v10
	v_lshlrev_b64 v[10:11], 4, v[10:11]
	v_add3_u32 v31, v12, v31, v6
	buffer_load_dword v6, off, s[0:3], s32 offset:204 ; 4-byte Folded Reload
	v_add_lshl_u32 v0, v61, v0, 3
	s_mov_b64 s[60:61], 0
	s_waitcnt vmcnt(0)
	v_add_co_u32_e32 v56, vcc, v6, v10
	buffer_load_dword v6, off, s[0:3], s32 offset:208 ; 4-byte Folded Reload
	v_mov_b32_e32 v10, v26
	s_waitcnt vmcnt(0)
	v_addc_co_u32_e32 v57, vcc, v6, v11, vcc
	s_branch .LBB4_59
.LBB4_58:                               ;   in Loop: Header=BB4_59 Depth=2
	s_or_b64 exec, exec, s[62:63]
	v_add_co_u32_e32 v30, vcc, v30, v13
	v_sub_u32_e32 v10, v10, v13
	v_addc_co_u32_e32 v31, vcc, 0, v31, vcc
	s_waitcnt vmcnt(0)
	v_alignbit_b32 v18, v12, v6, v0
	v_alignbit_b32 v20, v11, v12, v0
	v_mov_b32_e32 v21, v19
	v_cmp_gt_i32_e32 vcc, 1, v10
	global_store_dwordx4 v[56:57], v[18:21], off
	s_or_b64 s[60:61], vcc, s[60:61]
	v_add_co_u32_e32 v56, vcc, v56, v44
	v_add_u32_e32 v32, v32, v1
	v_add_u32_e32 v0, v0, v34
	v_addc_co_u32_e32 v57, vcc, v57, v45, vcc
	s_andn2_b64 exec, exec, s[60:61]
	s_cbranch_execz .LBB4_63
.LBB4_59:                               ;   Parent Loop BB4_21 Depth=1
                                        ; =>  This Inner Loop Header: Depth=2
	v_and_b32_e32 v20, -4, v30
	v_mov_b32_e32 v21, v31
	global_load_dword v6, v[20:21], off glc slc
	v_min_u32_e32 v11, 8, v10
	v_and_b32_e32 v12, 3, v30
	v_add_u32_e32 v42, v12, v11
	v_cmp_lt_u32_e32 vcc, 4, v42
	v_mov_b32_e32 v11, 0
	v_mov_b32_e32 v12, 0
	s_and_saveexec_b64 s[62:63], vcc
	s_cbranch_execz .LBB4_61
; %bb.60:                               ;   in Loop: Header=BB4_59 Depth=2
	global_load_dword v12, v[20:21], off offset:4 glc slc
.LBB4_61:                               ;   in Loop: Header=BB4_59 Depth=2
	s_or_b64 exec, exec, s[62:63]
	v_cmp_lt_u64_e32 vcc, 8, v[42:43]
	s_and_saveexec_b64 s[62:63], vcc
	s_cbranch_execz .LBB4_58
; %bb.62:                               ;   in Loop: Header=BB4_59 Depth=2
	global_load_dword v11, v[20:21], off offset:8 glc slc
	s_branch .LBB4_58
.LBB4_63:                               ;   in Loop: Header=BB4_21 Depth=1
	s_or_b64 exec, exec, s[60:61]
.LBB4_64:                               ;   in Loop: Header=BB4_21 Depth=1
	s_or_b64 exec, exec, s[18:19]
	v_and_b32_e32 v42, 0x7ffffff8, v22
	v_cmp_eq_u64_e32 vcc, s[44:45], v[42:43]
	v_cmp_gt_i32_e64 s[18:19], s34, v32
	s_and_b64 s[18:19], vcc, s[18:19]
	s_and_saveexec_b64 s[60:61], s[18:19]
	s_cbranch_execz .LBB4_67
; %bb.65:                               ;   in Loop: Header=BB4_21 Depth=1
	v_mul_lo_u32 v6, v7, s34
	v_ashrrev_i32_e32 v33, 31, v32
	v_lshlrev_b64 v[10:11], 4, v[32:33]
	v_mov_b32_e32 v18, v43
	v_ashrrev_i32_e32 v7, 31, v6
	v_lshlrev_b64 v[6:7], 4, v[6:7]
	s_mov_b64 s[62:63], 0
	s_waitcnt vmcnt(0) lgkmcnt(0)
	v_add_co_u32_e32 v0, vcc, v10, v6
	v_addc_co_u32_e32 v6, vcc, v11, v7, vcc
	v_add_co_u32_e32 v30, vcc, v38, v0
	v_addc_co_u32_e32 v31, vcc, v39, v6, vcc
.LBB4_66:                               ;   Parent Loop BB4_21 Depth=1
                                        ; =>  This Inner Loop Header: Depth=2
	v_mov_b32_e32 v20, v18
	v_mov_b32_e32 v21, v19
	v_add_u32_e32 v32, v32, v1
	global_store_dwordx4 v[30:31], v[18:21], off
	v_add_co_u32_e32 v30, vcc, v30, v44
	v_cmp_le_i32_e64 s[18:19], s34, v32
	s_or_b64 s[62:63], s[18:19], s[62:63]
	v_addc_co_u32_e32 v31, vcc, v31, v45, vcc
	s_andn2_b64 exec, exec, s[62:63]
	s_cbranch_execnz .LBB4_66
.LBB4_67:                               ;   in Loop: Header=BB4_21 Depth=1
	s_or_b64 exec, exec, s[60:61]
	buffer_load_dword v6, off, s[0:3], s32 offset:132 ; 4-byte Folded Reload
	buffer_load_dword v7, off, s[0:3], s32 offset:136 ; 4-byte Folded Reload
	v_add_co_u32_e64 v56, s[18:19], 1, v22
	v_addc_co_u32_e64 v57, s[18:19], 0, v23, s[18:19]
	s_waitcnt vmcnt(0)
	v_add_co_u32_e32 v6, vcc, v50, v6
	v_addc_co_u32_e32 v7, vcc, v51, v7, vcc
	s_andn2_b64 vcc, exec, s[42:43]
	buffer_store_dword v50, off, s[0:3], s32 offset:100 ; 4-byte Folded Spill
	s_nop 0
	buffer_store_dword v51, off, s[0:3], s32 offset:104 ; 4-byte Folded Spill
	buffer_store_dword v6, off, s[0:3], s32 offset:108 ; 4-byte Folded Spill
	;; [unrolled: 1-line block ×3, first 2 shown]
	s_cbranch_vccnz .LBB4_374
; %bb.68:                               ;   in Loop: Header=BB4_21 Depth=1
	buffer_store_dword v61, off, s[0:3], s32 offset:160 ; 4-byte Folded Spill
	s_nop 0
	buffer_store_dword v62, off, s[0:3], s32 offset:164 ; 4-byte Folded Spill
	s_waitcnt lgkmcnt(0)
	buffer_load_dword v0, off, s[0:3], s32 offset:188 ; 4-byte Folded Reload
	v_add_u16_e32 v50, 1, v22
	s_mov_b32 s48, 2
	s_waitcnt vmcnt(0)
	v_add_co_u32_e32 v6, vcc, v0, v6
	buffer_load_dword v0, off, s[0:3], s32 offset:192 ; 4-byte Folded Reload
	s_waitcnt vmcnt(0)
	v_addc_co_u32_e32 v7, vcc, v0, v7, vcc
	buffer_store_dword v6, off, s[0:3], s32 offset:84 ; 4-byte Folded Spill
	s_nop 0
	buffer_store_dword v7, off, s[0:3], s32 offset:88 ; 4-byte Folded Spill
	s_branch .LBB4_70
.LBB4_69:                               ;   in Loop: Header=BB4_70 Depth=2
	s_or_b64 exec, exec, s[60:61]
	v_add_co_u32_e32 v36, vcc, 1, v36
	v_addc_co_u32_e32 v37, vcc, 0, v37, vcc
	s_add_i32 s48, s48, 1
	v_add_co_u32_e32 v56, vcc, 1, v56
	v_addc_co_u32_e32 v57, vcc, 0, v57, vcc
	s_cmp_eq_u32 s48, s20
	v_add_u16_e32 v50, 1, v50
	s_cbranch_scc1 .LBB4_373
.LBB4_70:                               ;   Parent Loop BB4_21 Depth=1
                                        ; =>  This Loop Header: Depth=2
                                        ;       Child Loop BB4_75 Depth 3
                                        ;       Child Loop BB4_94 Depth 3
	;; [unrolled: 1-line block ×3, first 2 shown]
                                        ;         Child Loop BB4_116 Depth 4
                                        ;       Child Loop BB4_356 Depth 3
                                        ;       Child Loop BB4_365 Depth 3
	s_sub_i32 s26, s20, s48
	s_lshl_b64 s[18:19], s[26:27], 2
	s_waitcnt vmcnt(0) lgkmcnt(0)
	v_mov_b32_e32 v0, s19
	v_add_co_u32_e32 v6, vcc, s18, v24
	v_addc_co_u32_e32 v7, vcc, v25, v0, vcc
	flat_load_dword v0, v[6:7]
	s_and_saveexec_b64 s[60:61], s[6:7]
	s_cbranch_execz .LBB4_86
; %bb.71:                               ;   in Loop: Header=BB4_70 Depth=2
	v_add_co_u32_e32 v18, vcc, 1, v16
	v_addc_co_u32_e32 v19, vcc, 0, v17, vcc
	v_add_co_u32_e32 v6, vcc, 8, v54
	v_addc_co_u32_e32 v7, vcc, 0, v55, vcc
	v_cmp_lt_u64_e32 vcc, v[6:7], v[18:19]
	s_and_saveexec_b64 s[62:63], vcc
	s_cbranch_execz .LBB4_83
; %bb.72:                               ;   in Loop: Header=BB4_70 Depth=2
	s_mov_b32 s26, 0
	v_cmp_eq_u32_e32 vcc, 0, v40
	s_mov_b64 s[72:73], 0
                                        ; implicit-def: $sgpr74_sgpr75
                                        ; implicit-def: $sgpr76_sgpr77
                                        ; implicit-def: $sgpr78_sgpr79
	s_branch .LBB4_75
.LBB4_73:                               ;   in Loop: Header=BB4_75 Depth=3
	s_or_b64 exec, exec, s[30:31]
	s_andn2_b64 s[18:19], s[78:79], exec
	s_and_b64 s[78:79], s[92:93], exec
	s_or_b64 s[78:79], s[18:19], s[78:79]
	s_andn2_b64 s[18:19], s[76:77], exec
	s_and_b64 s[76:77], s[90:91], exec
	v_mov_b32_e32 v10, 0
	s_or_b64 s[76:77], s[18:19], s[76:77]
.LBB4_74:                               ;   in Loop: Header=BB4_75 Depth=3
	s_or_b64 exec, exec, s[88:89]
	s_and_b64 s[18:19], exec, s[76:77]
	s_or_b64 s[72:73], s[18:19], s[72:73]
	s_andn2_b64 s[18:19], s[74:75], exec
	s_and_b64 s[74:75], s[78:79], exec
	s_or_b64 s[74:75], s[18:19], s[74:75]
	s_andn2_b64 exec, exec, s[72:73]
	s_cbranch_execz .LBB4_80
.LBB4_75:                               ;   Parent Loop BB4_21 Depth=1
                                        ;     Parent Loop BB4_70 Depth=2
                                        ; =>    This Inner Loop Header: Depth=3
	s_sleep 1
	s_waitcnt vmcnt(0) lgkmcnt(0)
	flat_load_dwordx2 v[54:55], v[52:53] glc
	s_or_b64 s[78:79], s[78:79], exec
	s_or_b64 s[76:77], s[76:77], exec
	v_mov_b32_e32 v10, v40
                                        ; implicit-def: $vgpr7
	s_and_saveexec_b64 s[88:89], vcc
	s_cbranch_execz .LBB4_74
; %bb.76:                               ;   in Loop: Header=BB4_75 Depth=3
	s_add_i32 s26, s26, 1
	s_cmpk_lg_i32 s26, 0x2710
	s_cselect_b64 s[94:95], -1, 0
	s_cmpk_eq_i32 s26, 0x2710
	s_mov_b64 s[90:91], -1
	s_mov_b64 s[92:93], -1
                                        ; implicit-def: $vgpr7
	s_cbranch_scc1 .LBB4_78
; %bb.77:                               ;   in Loop: Header=BB4_75 Depth=3
	s_and_saveexec_b64 s[30:31], s[94:95]
	s_cbranch_execz .LBB4_73
	s_branch .LBB4_79
.LBB4_78:                               ;   in Loop: Header=BB4_75 Depth=3
	s_trap 2
	s_waitcnt vmcnt(0) lgkmcnt(0)
	ds_read_b64 v[6:7], v0
	s_andn2_b64 s[94:95], s[94:95], exec
	s_mov_b32 s26, 0
	s_mov_b64 s[92:93], 0
	s_waitcnt lgkmcnt(0)
	flat_load_dword v7, v[6:7] glc
	s_waitcnt vmcnt(0) lgkmcnt(0)
	buffer_wbinvl1_vol
	v_cmp_eq_u32_e64 s[18:19], 0, v7
	s_and_b64 s[18:19], s[18:19], exec
	s_or_b64 s[94:95], s[94:95], s[18:19]
	s_and_saveexec_b64 s[30:31], s[94:95]
	s_cbranch_execz .LBB4_73
.LBB4_79:                               ;   in Loop: Header=BB4_75 Depth=3
	s_waitcnt vmcnt(0) lgkmcnt(0)
	v_add_co_u32_e64 v10, s[18:19], 8, v54
	v_addc_co_u32_e64 v11, s[18:19], 0, v55, s[18:19]
	v_cmp_ge_u64_e64 s[18:19], v[10:11], v[18:19]
	s_or_b64 s[92:93], s[92:93], exec
	s_orn2_b64 s[90:91], s[18:19], exec
	s_branch .LBB4_73
.LBB4_80:                               ;   in Loop: Header=BB4_70 Depth=2
	s_or_b64 exec, exec, s[72:73]
	s_xor_b64 s[18:19], s[74:75], -1
	s_and_saveexec_b64 s[72:73], s[18:19]
	s_xor_b64 s[18:19], exec, s[72:73]
	s_cbranch_execz .LBB4_82
; %bb.81:                               ;   in Loop: Header=BB4_70 Depth=2
	v_mov_b32_e32 v10, 1
	s_waitcnt vmcnt(0) lgkmcnt(0)
	ds_write_b32 v0, v7
	s_trap 2
.LBB4_82:                               ;   in Loop: Header=BB4_70 Depth=2
	s_or_b64 exec, exec, s[18:19]
	v_mov_b32_e32 v40, v10
.LBB4_83:                               ;   in Loop: Header=BB4_70 Depth=2
	s_or_b64 exec, exec, s[62:63]
	s_and_saveexec_b64 s[18:19], s[8:9]
	s_cbranch_execz .LBB4_85
; %bb.84:                               ;   in Loop: Header=BB4_70 Depth=2
	buffer_load_dword v11, off, s[0:3], s32 offset:92 ; 4-byte Folded Reload
	v_and_b32_e32 v42, 0x7ffffff8, v16
	v_and_b32_e32 v6, 7, v16
	v_mad_u64_u32 v[6:7], s[62:63], v6, 24, v[14:15]
	v_cmp_eq_u64_e32 vcc, s[44:45], v[42:43]
	v_mov_b32_e32 v10, s21
	s_waitcnt vmcnt(0)
	v_cndmask_b32_e32 v10, v11, v10, vcc
	v_ashrrev_i32_e32 v11, 31, v10
	flat_store_dwordx2 v[6:7], v[10:11] offset:8
	s_waitcnt vmcnt(0)
.LBB4_85:                               ;   in Loop: Header=BB4_70 Depth=2
	s_or_b64 exec, exec, s[18:19]
	v_mov_b32_e32 v16, v18
	v_mov_b32_e32 v17, v19
.LBB4_86:                               ;   in Loop: Header=BB4_70 Depth=2
	s_or_b64 exec, exec, s[60:61]
	s_and_saveexec_b64 s[18:19], s[10:11]
	s_cbranch_execz .LBB4_105
; %bb.87:                               ;   in Loop: Header=BB4_70 Depth=2
	s_and_saveexec_b64 s[60:61], s[40:41]
	s_xor_b64 s[60:61], exec, s[60:61]
	s_cbranch_execz .LBB4_102
; %bb.88:                               ;   in Loop: Header=BB4_70 Depth=2
	s_and_saveexec_b64 s[62:63], s[12:13]
	s_cbranch_execz .LBB4_101
; %bb.89:                               ;   in Loop: Header=BB4_70 Depth=2
	s_mov_b64 s[74:75], exec
	v_mbcnt_lo_u32_b32 v6, s74, 0
	v_mbcnt_hi_u32_b32 v6, s75, v6
	v_cmp_eq_u32_e32 vcc, 0, v6
	s_waitcnt vmcnt(0) lgkmcnt(0)
	buffer_wbinvl1_vol
	s_and_saveexec_b64 s[72:73], vcc
	s_cbranch_execz .LBB4_91
; %bb.90:                               ;   in Loop: Header=BB4_70 Depth=2
	s_bcnt1_i32_b64 s26, s[74:75]
	v_mov_b32_e32 v42, s26
	ds_add_u64 v0, v[42:43]
	s_trap 2
.LBB4_91:                               ;   in Loop: Header=BB4_70 Depth=2
	s_or_b64 exec, exec, s[72:73]
	s_trap 2
	ds_read_b64 v[6:7], v0
	s_waitcnt lgkmcnt(0)
	buffer_load_dword v10, off, s[0:3], s32 offset:96 ; 4-byte Folded Reload
	s_waitcnt vmcnt(0)
	v_add_co_u32_e32 v2, vcc, v2, v10
	v_addc_co_u32_e32 v3, vcc, 0, v3, vcc
	v_cmp_lt_u64_e32 vcc, v[6:7], v[2:3]
	s_and_saveexec_b64 s[72:73], vcc
	s_cbranch_execz .LBB4_100
; %bb.92:                               ;   in Loop: Header=BB4_70 Depth=2
	s_mov_b32 s26, 0
	s_mov_b64 s[74:75], 0
                                        ; implicit-def: $sgpr76_sgpr77
                                        ; implicit-def: $sgpr78_sgpr79
	s_branch .LBB4_94
.LBB4_93:                               ;   in Loop: Header=BB4_94 Depth=3
	s_or_b64 exec, exec, s[90:91]
	s_and_b64 s[88:89], exec, s[92:93]
	s_or_b64 s[74:75], s[88:89], s[74:75]
	s_andn2_b64 s[76:77], s[76:77], exec
	s_and_b64 s[88:89], s[78:79], exec
	s_or_b64 s[76:77], s[76:77], s[88:89]
	s_andn2_b64 exec, exec, s[74:75]
	s_cbranch_execz .LBB4_98
.LBB4_94:                               ;   Parent Loop BB4_21 Depth=1
                                        ;     Parent Loop BB4_70 Depth=2
                                        ; =>    This Inner Loop Header: Depth=3
	s_add_i32 s26, s26, 1
	s_cmpk_lg_i32 s26, 0x2710
	s_cselect_b64 s[88:89], -1, 0
	s_and_b64 vcc, exec, s[88:89]
	s_cbranch_vccz .LBB4_96
; %bb.95:                               ;   in Loop: Header=BB4_94 Depth=3
	s_mov_b64 s[92:93], -1
	s_or_b64 s[78:79], s[78:79], exec
	s_and_saveexec_b64 s[90:91], s[88:89]
	s_cbranch_execz .LBB4_93
	s_branch .LBB4_97
.LBB4_96:                               ;   in Loop: Header=BB4_94 Depth=3
	s_trap 2
	ds_read_b64 v[6:7], v0
	s_andn2_b64 s[88:89], s[88:89], exec
	s_mov_b32 s26, 0
	s_waitcnt lgkmcnt(0)
	flat_load_dword v6, v[6:7] glc
	s_waitcnt vmcnt(0) lgkmcnt(0)
	buffer_wbinvl1_vol
	v_cmp_eq_u32_e32 vcc, 0, v6
	s_and_b64 s[90:91], vcc, exec
	s_or_b64 s[88:89], s[88:89], s[90:91]
	s_mov_b64 s[92:93], -1
	s_or_b64 s[78:79], s[78:79], exec
	s_and_saveexec_b64 s[90:91], s[88:89]
	s_cbranch_execz .LBB4_93
.LBB4_97:                               ;   in Loop: Header=BB4_94 Depth=3
	s_sleep 1
	s_trap 2
	ds_read_b64 v[6:7], v0
	s_waitcnt lgkmcnt(0)
	s_andn2_b64 s[78:79], s[78:79], exec
	v_cmp_ge_u64_e32 vcc, v[6:7], v[2:3]
	s_orn2_b64 s[92:93], vcc, exec
	s_branch .LBB4_93
.LBB4_98:                               ;   in Loop: Header=BB4_70 Depth=2
	s_or_b64 exec, exec, s[74:75]
	s_and_saveexec_b64 s[74:75], s[76:77]
	s_xor_b64 s[74:75], exec, s[74:75]
	s_cbranch_execz .LBB4_100
; %bb.99:                               ;   in Loop: Header=BB4_70 Depth=2
	v_mov_b32_e32 v6, 1
	ds_write_b32 v0, v6
	s_trap 2
.LBB4_100:                              ;   in Loop: Header=BB4_70 Depth=2
	s_or_b64 exec, exec, s[72:73]
	;;#ASMSTART
	s_wakeup
	;;#ASMEND
.LBB4_101:                              ;   in Loop: Header=BB4_70 Depth=2
	s_or_b64 exec, exec, s[62:63]
.LBB4_102:                              ;   in Loop: Header=BB4_70 Depth=2
	s_andn2_saveexec_b64 s[60:61], s[60:61]
	s_cbranch_execz .LBB4_104
; %bb.103:                              ;   in Loop: Header=BB4_70 Depth=2
	s_waitcnt vmcnt(0) lgkmcnt(0)
	buffer_wbinvl1_vol
	s_barrier
.LBB4_104:                              ;   in Loop: Header=BB4_70 Depth=2
	s_or_b64 exec, exec, s[60:61]
.LBB4_105:                              ;   in Loop: Header=BB4_70 Depth=2
	s_or_b64 exec, exec, s[18:19]
	v_add_u32_e32 v19, 1, v56
	v_mov_b32_e32 v60, v4
	s_and_saveexec_b64 s[60:61], s[16:17]
	s_cbranch_execz .LBB4_348
; %bb.106:                              ;   in Loop: Header=BB4_70 Depth=2
	buffer_load_dword v7, off, s[0:3], s32 offset:60 ; 4-byte Folded Reload
	buffer_load_dword v10, off, s[0:3], s32 offset:84 ; 4-byte Folded Reload
	buffer_load_dword v11, off, s[0:3], s32 offset:88 ; 4-byte Folded Reload
	s_waitcnt vmcnt(0) lgkmcnt(0)
	v_ashrrev_i32_e32 v6, 31, v0
	s_mov_b64 s[62:63], 0
	v_mov_b32_e32 v41, v26
	v_mov_b32_e32 v60, v4
	v_mad_u64_u32 v[32:33], s[18:19], v7, v0, v[10:11]
	buffer_load_dword v10, off, s[0:3], s32 offset:64 ; 4-byte Folded Reload
	buffer_load_dword v11, off, s[0:3], s32 offset:76 ; 4-byte Folded Reload
	;; [unrolled: 1-line block ×3, first 2 shown]
	v_mul_lo_u32 v7, v7, v6
	v_and_b32_e32 v6, 7, v36
	v_mul_lo_u32 v6, v6, s34
	s_waitcnt vmcnt(2)
	v_mul_lo_u32 v0, v10, v0
	v_add3_u32 v33, v0, v33, v7
	v_and_b32_e32 v0, 7, v56
	v_mul_lo_u32 v10, v0, s34
	v_ashrrev_i32_e32 v7, 31, v6
	v_lshlrev_b64 v[6:7], 4, v[6:7]
	s_waitcnt vmcnt(1)
	v_add_co_u32_e32 v51, vcc, v11, v6
	v_ashrrev_i32_e32 v11, 31, v10
	v_lshlrev_b64 v[10:11], 4, v[10:11]
	s_waitcnt vmcnt(0)
	v_addc_co_u32_e32 v7, vcc, v12, v7, vcc
	v_add_co_u32_e32 v10, vcc, v38, v10
	v_add_u32_e32 v12, 1, v36
	v_addc_co_u32_e32 v11, vcc, v39, v11, vcc
	s_branch .LBB4_108
.LBB4_107:                              ;   in Loop: Header=BB4_108 Depth=3
	s_or_b64 exec, exec, s[18:19]
	v_add_co_u32_e32 v32, vcc, v32, v13
	v_addc_co_u32_e32 v33, vcc, 0, v33, vcc
	v_lshlrev_b32_e32 v0, 8, v34
	v_lshlrev_b32_e32 v6, 16, v30
	v_or3_b32 v0, v0, v18, v6
	v_lshlrev_b32_e32 v18, 8, v35
	v_lshlrev_b32_e32 v21, 16, v28
	v_add_co_u32_e32 v22, vcc, v10, v61
	v_or3_b32 v21, v18, v23, v21
	v_addc_co_u32_e32 v23, vcc, v11, v62, vcc
	v_sub_u32_e32 v41, v41, v13
	v_lshlrev_b32_e32 v6, 24, v31
	v_lshlrev_b32_e32 v20, 24, v20
	v_cmp_gt_i32_e32 vcc, 1, v41
	v_or3_b32 v18, v0, v6, 0
	v_or3_b32 v20, v21, v20, 0
	v_mov_b32_e32 v21, v19
	s_or_b64 s[62:63], vcc, s[62:63]
	v_add_u32_e32 v60, v60, v1
	global_store_dwordx4 v[22:23], v[18:21], off
	s_andn2_b64 exec, exec, s[62:63]
	s_cbranch_execz .LBB4_360
.LBB4_108:                              ;   Parent Loop BB4_21 Depth=1
                                        ;     Parent Loop BB4_70 Depth=2
                                        ; =>    This Loop Header: Depth=3
                                        ;         Child Loop BB4_116 Depth 4
	v_and_b32_e32 v20, -4, v32
	v_mov_b32_e32 v21, v33
	global_load_dword v0, v[20:21], off glc slc
	v_min_u32_e32 v6, 8, v41
	v_and_b32_e32 v18, 3, v32
	v_add_u32_e32 v42, v18, v6
	v_cmp_lt_u32_e32 vcc, 4, v42
	v_mov_b32_e32 v35, 0
	v_mov_b32_e32 v46, 0
	s_and_saveexec_b64 s[18:19], vcc
	s_cbranch_execz .LBB4_110
; %bb.109:                              ;   in Loop: Header=BB4_108 Depth=3
	global_load_dword v46, v[20:21], off offset:4 glc slc
.LBB4_110:                              ;   in Loop: Header=BB4_108 Depth=3
	s_or_b64 exec, exec, s[18:19]
	v_cmp_lt_u64_e32 vcc, 8, v[42:43]
	s_and_saveexec_b64 s[18:19], vcc
	s_cbranch_execz .LBB4_112
; %bb.111:                              ;   in Loop: Header=BB4_108 Depth=3
	global_load_dword v35, v[20:21], off offset:8 glc slc
.LBB4_112:                              ;   in Loop: Header=BB4_108 Depth=3
	s_or_b64 exec, exec, s[18:19]
	v_ashrrev_i32_e32 v61, 31, v60
	v_lshlrev_b64 v[61:62], 4, v[60:61]
	v_add_co_u32_e32 v30, vcc, v51, v61
	v_addc_co_u32_e32 v31, vcc, v7, v62, vcc
	global_load_dwordx4 v[20:23], v[30:31], off glc slc
	v_cmp_eq_u32_e32 vcc, 0, v40
	s_and_saveexec_b64 s[72:73], vcc
	s_cbranch_execz .LBB4_124
; %bb.113:                              ;   in Loop: Header=BB4_108 Depth=3
	s_waitcnt vmcnt(0)
	v_cmp_ne_u32_e32 vcc, v12, v21
	v_cmp_ne_u32_e64 s[18:19], v12, v23
	s_or_b64 s[18:19], vcc, s[18:19]
	v_mov_b32_e32 v40, 0
	s_and_saveexec_b64 s[74:75], s[18:19]
	s_cbranch_execz .LBB4_123
; %bb.114:                              ;   in Loop: Header=BB4_108 Depth=3
	s_mov_b32 s26, 1
	s_mov_b64 s[78:79], 0
                                        ; implicit-def: $sgpr76_sgpr77
                                        ; implicit-def: $sgpr88_sgpr89
	s_branch .LBB4_116
.LBB4_115:                              ;   in Loop: Header=BB4_116 Depth=4
	s_or_b64 exec, exec, s[92:93]
	s_and_b64 s[18:19], exec, s[18:19]
	s_or_b64 s[78:79], s[18:19], s[78:79]
	s_andn2_b64 s[18:19], s[76:77], exec
	s_and_b64 s[76:77], s[88:89], exec
	s_or_b64 s[76:77], s[18:19], s[76:77]
	s_andn2_b64 exec, exec, s[78:79]
	s_cbranch_execz .LBB4_120
.LBB4_116:                              ;   Parent Loop BB4_21 Depth=1
                                        ;     Parent Loop BB4_70 Depth=2
                                        ;       Parent Loop BB4_108 Depth=3
                                        ; =>      This Inner Loop Header: Depth=4
	global_load_dwordx4 v[20:23], v[30:31], off glc slc
	s_add_i32 s26, s26, 1
	s_mov_b64 s[18:19], -1
	s_cmpk_lg_i32 s26, 0x2710
	s_mov_b64 s[90:91], -1
                                        ; implicit-def: $vgpr18
	s_cbranch_scc0 .LBB4_118
; %bb.117:                              ;   in Loop: Header=BB4_116 Depth=4
	s_or_b64 s[88:89], s[88:89], exec
	s_and_saveexec_b64 s[92:93], s[90:91]
	s_cbranch_execz .LBB4_115
	s_branch .LBB4_119
.LBB4_118:                              ;   in Loop: Header=BB4_116 Depth=4
	s_trap 2
	ds_read_b64 v[28:29], v0
	s_mov_b32 s26, 0
	s_waitcnt vmcnt(0) lgkmcnt(0)
	flat_load_dword v18, v[28:29] glc
	s_waitcnt vmcnt(0) lgkmcnt(0)
	buffer_wbinvl1_vol
	v_cmp_eq_u32_e32 vcc, 0, v18
	s_orn2_b64 s[90:91], vcc, exec
	s_or_b64 s[88:89], s[88:89], exec
	s_and_saveexec_b64 s[92:93], s[90:91]
	s_cbranch_execz .LBB4_115
.LBB4_119:                              ;   in Loop: Header=BB4_116 Depth=4
	s_waitcnt vmcnt(0)
	v_cmp_eq_u32_e32 vcc, v12, v21
	v_cmp_eq_u32_e64 s[18:19], v12, v23
	s_and_b64 s[18:19], vcc, s[18:19]
	s_andn2_b64 s[88:89], s[88:89], exec
	s_orn2_b64 s[18:19], s[18:19], exec
	s_branch .LBB4_115
.LBB4_120:                              ;   in Loop: Header=BB4_108 Depth=3
	s_or_b64 exec, exec, s[78:79]
	v_mov_b32_e32 v40, 0
	s_and_saveexec_b64 s[18:19], s[76:77]
	s_xor_b64 s[18:19], exec, s[18:19]
	s_cbranch_execz .LBB4_122
; %bb.121:                              ;   in Loop: Header=BB4_108 Depth=3
	v_mov_b32_e32 v40, 1
	ds_write_b32 v0, v18
	s_trap 2
.LBB4_122:                              ;   in Loop: Header=BB4_108 Depth=3
	s_or_b64 exec, exec, s[18:19]
.LBB4_123:                              ;   in Loop: Header=BB4_108 Depth=3
	s_or_b64 exec, exec, s[74:75]
.LBB4_124:                              ;   in Loop: Header=BB4_108 Depth=3
	s_or_b64 exec, exec, s[72:73]
	s_waitcnt vmcnt(0)
	v_cmp_ne_u16_sdwa s[72:73], v20, v43 src0_sel:BYTE_0 src1_sel:DWORD
	v_mov_b32_e32 v18, 0
	v_mov_b32_e32 v28, 0
	s_and_saveexec_b64 s[18:19], s[72:73]
	s_cbranch_execz .LBB4_130
; %bb.125:                              ;   in Loop: Header=BB4_108 Depth=3
	v_cmp_ne_u16_sdwa s[74:75], v20, s36 src0_sel:BYTE_0 src1_sel:DWORD
	v_bfrev_b32_e32 v28, 1
	s_and_saveexec_b64 s[72:73], s[74:75]
	s_cbranch_execz .LBB4_129
; %bb.126:                              ;   in Loop: Header=BB4_108 Depth=3
	v_and_b32_e32 v6, 0x7f, v20
	v_cmp_ne_u32_e32 vcc, s37, v6
	v_mov_b32_e32 v28, 0x7f800001
	s_and_saveexec_b64 s[74:75], vcc
	s_cbranch_execz .LBB4_128
; %bb.127:                              ;   in Loop: Header=BB4_108 Depth=3
	v_and_b32_e32 v28, 7, v20
	v_lshrrev_b32_e32 v29, 3, v6
	v_cmp_gt_u32_e32 vcc, 8, v6
	v_ffbh_u32_e32 v6, v28
	v_min_u32_e32 v6, 32, v6
	v_subrev_u32_e32 v28, 28, v6
	v_sub_u32_e32 v6, 29, v6
	v_cndmask_b32_e32 v28, 0, v28, vcc
	v_cndmask_b32_e32 v6, v29, v6, vcc
	v_lshlrev_b64 v[28:29], v28, v[20:21]
	v_lshl_add_u32 v6, v6, 23, v27
	v_lshlrev_b32_e32 v21, 20, v28
	v_lshlrev_b32_e32 v28, 24, v20
	v_and_b32_e32 v21, 0x700000, v21
	v_and_b32_e32 v28, 0x80000000, v28
	v_or3_b32 v28, v28, v6, v21
.LBB4_128:                              ;   in Loop: Header=BB4_108 Depth=3
	s_or_b64 exec, exec, s[74:75]
.LBB4_129:                              ;   in Loop: Header=BB4_108 Depth=3
	s_or_b64 exec, exec, s[72:73]
.LBB4_130:                              ;   in Loop: Header=BB4_108 Depth=3
	s_or_b64 exec, exec, s[18:19]
	v_lshlrev_b32_e32 v47, 3, v32
	v_alignbit_b32 v42, v46, v0, v47
	v_cmp_ne_u16_sdwa s[72:73], v42, v43 src0_sel:BYTE_0 src1_sel:DWORD
	s_and_saveexec_b64 s[18:19], s[72:73]
	s_cbranch_execz .LBB4_136
; %bb.131:                              ;   in Loop: Header=BB4_108 Depth=3
	v_cmp_ne_u16_sdwa s[74:75], v42, s36 src0_sel:BYTE_0 src1_sel:DWORD
	v_bfrev_b32_e32 v18, 1
	s_and_saveexec_b64 s[72:73], s[74:75]
	s_cbranch_execz .LBB4_135
; %bb.132:                              ;   in Loop: Header=BB4_108 Depth=3
	v_and_b32_e32 v0, 0x7f, v42
	v_cmp_ne_u32_e32 vcc, s37, v0
	v_mov_b32_e32 v18, 0x7f800001
	s_and_saveexec_b64 s[74:75], vcc
	s_cbranch_execz .LBB4_134
; %bb.133:                              ;   in Loop: Header=BB4_108 Depth=3
	v_and_b32_e32 v6, 7, v42
	v_lshrrev_b32_e32 v18, 3, v0
	v_cmp_gt_u32_e32 vcc, 8, v0
	v_ffbh_u32_e32 v0, v6
	v_min_u32_e32 v0, 32, v0
	v_subrev_u32_e32 v6, 28, v0
	v_cndmask_b32_e32 v6, 0, v6, vcc
	v_lshlrev_b64 v[29:30], v6, v[42:43]
	v_sub_u32_e32 v0, 29, v0
	v_cndmask_b32_e32 v0, v18, v0, vcc
	v_lshlrev_b32_e32 v6, 20, v29
	v_lshlrev_b32_e32 v18, 24, v42
	v_and_b32_e32 v6, 0x700000, v6
	v_and_b32_e32 v18, 0x80000000, v18
	v_lshl_add_u32 v0, v0, 23, v27
	v_or3_b32 v18, v18, v0, v6
.LBB4_134:                              ;   in Loop: Header=BB4_108 Depth=3
	s_or_b64 exec, exec, s[74:75]
.LBB4_135:                              ;   in Loop: Header=BB4_108 Depth=3
	s_or_b64 exec, exec, s[72:73]
.LBB4_136:                              ;   in Loop: Header=BB4_108 Depth=3
	s_or_b64 exec, exec, s[18:19]
	v_mul_f32_e32 v21, v28, v18
	v_and_b32_e32 v28, 0x7f800000, v21
	v_mov_b32_e32 v29, v43
	v_cmp_ne_u64_e32 vcc, s[46:47], v[28:29]
                                        ; implicit-def: $vgpr18
	s_and_saveexec_b64 s[18:19], vcc
	s_xor_b64 s[72:73], exec, s[18:19]
	s_cbranch_execz .LBB4_150
; %bb.137:                              ;   in Loop: Header=BB4_108 Depth=3
	v_and_b32_e32 v28, 0x7fffffff, v21
	v_mov_b32_e32 v29, v43
	v_cmp_gt_u64_e32 vcc, s[56:57], v[28:29]
	v_and_b32_sdwa v0, v21, s36 dst_sel:DWORD dst_unused:UNUSED_PAD src0_sel:BYTE_3 src1_sel:DWORD
                                        ; implicit-def: $vgpr18
	s_and_saveexec_b64 s[18:19], vcc
	s_xor_b64 s[74:75], exec, s[18:19]
	s_cbranch_execz .LBB4_147
; %bb.138:                              ;   in Loop: Header=BB4_108 Depth=3
	v_mov_b32_e32 v18, 0
	v_cmp_ne_u32_e32 vcc, 0, v21
	s_and_saveexec_b64 s[76:77], vcc
	s_cbranch_execz .LBB4_146
; %bb.139:                              ;   in Loop: Header=BB4_108 Depth=3
	v_bfe_u32 v18, v21, 23, 8
	v_and_b32_e32 v6, 0x7fffff, v21
	v_cmp_gt_u32_e64 s[18:19], s38, v18
	v_sub_u32_e32 v21, 0x79, v18
	v_cmp_eq_u32_e32 vcc, 0, v18
	v_cndmask_b32_e64 v21, 0, v21, s[18:19]
	v_or_b32_e32 v28, 0x800000, v6
	v_cndmask_b32_e32 v21, v21, v5, vcc
	v_cndmask_b32_e32 v28, v28, v6, vcc
	v_add_u32_e32 v6, 20, v21
	v_lshlrev_b64 v[30:31], v6, -1
	v_add_u32_e32 v6, 19, v21
	v_lshlrev_b64 v[58:59], v6, 1
	v_mov_b32_e32 v29, v43
	v_bfi_b32 v31, v31, 0, 0
	v_bfi_b32 v30, v30, 0, v28
	v_cmp_eq_u64_e64 s[18:19], v[30:31], v[58:59]
	v_lshrrev_b64 v[30:31], v21, v[28:29]
	v_mov_b32_e32 v28, v30
	v_mov_b32_e32 v29, v31
	s_and_saveexec_b64 s[78:79], s[18:19]
; %bb.140:                              ;   in Loop: Header=BB4_108 Depth=3
	v_bfe_u32 v6, v30, 20, 1
	v_add_co_u32_e64 v6, s[18:19], v30, v6
	v_add_co_u32_e64 v28, s[18:19], -1, v6
; %bb.141:                              ;   in Loop: Header=BB4_108 Depth=3
	s_or_b64 exec, exec, s[78:79]
	v_add_u32_e32 v6, 0xffffff81, v18
	v_cndmask_b32_e32 v6, v6, v8, vcc
	v_lshrrev_b32_e32 v18, 23, v30
	v_add3_u32 v21, v21, v6, v18
	v_add_u32_e32 v6, 6, v21
	v_and_b32_e32 v18, 0xfffff, v28
	v_add_u32_e32 v30, v18, v30
	v_mov_b32_e32 v31, v43
	v_cmp_ne_u32_e32 vcc, 0, v6
                                        ; implicit-def: $vgpr18
	s_and_saveexec_b64 s[18:19], vcc
	s_xor_b64 s[18:19], exec, s[18:19]
; %bb.142:                              ;   in Loop: Header=BB4_108 Depth=3
	v_cmp_lt_u64_e32 vcc, s[58:59], v[30:31]
	v_add_u32_e32 v18, 7, v21
	v_cndmask_b32_e32 v18, v6, v18, vcc
	v_cndmask_b32_e64 v6, 0, 1, vcc
	v_lshrrev_b64 v[30:31], v6, v[30:31]
; %bb.143:                              ;   in Loop: Header=BB4_108 Depth=3
	s_andn2_saveexec_b64 s[18:19], s[18:19]
; %bb.144:                              ;   in Loop: Header=BB4_108 Depth=3
	v_bfe_u32 v18, v30, 23, 1
; %bb.145:                              ;   in Loop: Header=BB4_108 Depth=3
	s_or_b64 exec, exec, s[18:19]
	v_lshrrev_b64 v[28:29], 20, v[30:31]
	v_cmp_gt_i32_e32 vcc, 16, v18
	v_cndmask_b32_e32 v29, 0, v29, vcc
	v_cndmask_b32_e32 v28, 7, v28, vcc
	v_min_i32_e32 v6, 15, v18
	v_cmp_eq_u64_e64 s[18:19], 0, v[28:29]
	v_lshlrev_b32_e32 v6, 3, v6
	v_cmp_eq_u32_e32 vcc, 0, v18
	v_and_b32_e32 v6, 0xf8, v6
	v_and_or_b32 v6, v28, 7, v6
	s_and_b64 s[18:19], vcc, s[18:19]
	v_cndmask_b32_e64 v6, v6, 0, s[18:19]
	v_or_b32_e32 v18, v6, v0
.LBB4_146:                              ;   in Loop: Header=BB4_108 Depth=3
	s_or_b64 exec, exec, s[76:77]
                                        ; implicit-def: $vgpr0
.LBB4_147:                              ;   in Loop: Header=BB4_108 Depth=3
	s_andn2_saveexec_b64 s[18:19], s[74:75]
; %bb.148:                              ;   in Loop: Header=BB4_108 Depth=3
	v_or_b32_e32 v18, 0x7e, v0
; %bb.149:                              ;   in Loop: Header=BB4_108 Depth=3
	s_or_b64 exec, exec, s[18:19]
                                        ; implicit-def: $vgpr21
.LBB4_150:                              ;   in Loop: Header=BB4_108 Depth=3
	s_andn2_saveexec_b64 s[18:19], s[72:73]
; %bb.151:                              ;   in Loop: Header=BB4_108 Depth=3
	v_or_b32_sdwa v18, v21, s37 dst_sel:DWORD dst_unused:UNUSED_PAD src0_sel:BYTE_3 src1_sel:DWORD
; %bb.152:                              ;   in Loop: Header=BB4_108 Depth=3
	s_or_b64 exec, exec, s[18:19]
	v_lshrrev_b16_e32 v0, 8, v20
	v_cmp_ne_u16_e32 vcc, 0, v0
	v_mov_b32_e32 v21, 0
	v_mov_b32_e32 v28, 0
	s_and_saveexec_b64 s[18:19], vcc
	s_cbranch_execz .LBB4_158
; %bb.153:                              ;   in Loop: Header=BB4_108 Depth=3
	v_cmp_ne_u16_e32 vcc, s36, v0
	v_bfrev_b32_e32 v28, 1
	s_and_saveexec_b64 s[72:73], vcc
	s_cbranch_execz .LBB4_157
; %bb.154:                              ;   in Loop: Header=BB4_108 Depth=3
	v_and_b32_e32 v6, 0x7f, v0
	v_cmp_ne_u32_e32 vcc, s37, v6
	v_mov_b32_e32 v28, 0x7f800001
	s_and_saveexec_b64 s[74:75], vcc
	s_cbranch_execz .LBB4_156
; %bb.155:                              ;   in Loop: Header=BB4_108 Depth=3
	v_and_b32_e32 v30, 7, v0
	v_lshrrev_b32_e32 v31, 3, v6
	v_cmp_gt_u32_e32 vcc, 8, v6
	v_ffbh_u32_e32 v6, v30
	v_min_u32_e32 v6, 32, v6
	v_subrev_u32_e32 v28, 28, v6
	v_lshlrev_b64 v[28:29], v28, v[0:1]
	v_sub_u32_e32 v0, 29, v6
	v_and_b32_e32 v6, 7, v28
	v_cndmask_b32_e32 v0, v31, v0, vcc
	v_cndmask_b32_e32 v6, v30, v6, vcc
	v_lshlrev_b32_e32 v28, 16, v20
	v_lshlrev_b32_e32 v6, 20, v6
	v_and_b32_e32 v28, 0x80000000, v28
	v_lshl_add_u32 v0, v0, 23, v27
	v_or3_b32 v28, v28, v0, v6
.LBB4_156:                              ;   in Loop: Header=BB4_108 Depth=3
	s_or_b64 exec, exec, s[74:75]
.LBB4_157:                              ;   in Loop: Header=BB4_108 Depth=3
	s_or_b64 exec, exec, s[72:73]
.LBB4_158:                              ;   in Loop: Header=BB4_108 Depth=3
	s_or_b64 exec, exec, s[18:19]
	v_lshrrev_b16_e32 v0, 8, v42
	v_cmp_ne_u16_e32 vcc, 0, v0
	s_and_saveexec_b64 s[18:19], vcc
	s_cbranch_execz .LBB4_164
; %bb.159:                              ;   in Loop: Header=BB4_108 Depth=3
	v_cmp_ne_u16_e32 vcc, s36, v0
	v_bfrev_b32_e32 v21, 1
	s_and_saveexec_b64 s[72:73], vcc
	s_cbranch_execz .LBB4_163
; %bb.160:                              ;   in Loop: Header=BB4_108 Depth=3
	v_and_b32_e32 v6, 0x7f, v0
	v_cmp_ne_u32_e32 vcc, s37, v6
	v_mov_b32_e32 v21, 0x7f800001
	s_and_saveexec_b64 s[74:75], vcc
	s_cbranch_execz .LBB4_162
; %bb.161:                              ;   in Loop: Header=BB4_108 Depth=3
	v_and_b32_e32 v21, 7, v0
	v_lshrrev_b32_e32 v31, 3, v6
	v_cmp_gt_u32_e32 vcc, 8, v6
	v_ffbh_u32_e32 v6, v21
	v_min_u32_e32 v6, 32, v6
	v_subrev_u32_e32 v29, 28, v6
	v_lshlrev_b64 v[29:30], v29, v[0:1]
	v_sub_u32_e32 v0, 29, v6
	v_and_b32_e32 v6, 7, v29
	v_cndmask_b32_e32 v0, v31, v0, vcc
	v_cndmask_b32_e32 v6, v21, v6, vcc
	v_lshlrev_b32_e32 v21, 16, v42
	v_lshlrev_b32_e32 v6, 20, v6
	v_and_b32_e32 v21, 0x80000000, v21
	v_lshl_add_u32 v0, v0, 23, v27
	v_or3_b32 v21, v21, v0, v6
.LBB4_162:                              ;   in Loop: Header=BB4_108 Depth=3
	s_or_b64 exec, exec, s[74:75]
.LBB4_163:                              ;   in Loop: Header=BB4_108 Depth=3
	s_or_b64 exec, exec, s[72:73]
.LBB4_164:                              ;   in Loop: Header=BB4_108 Depth=3
	s_or_b64 exec, exec, s[18:19]
	v_mul_f32_e32 v21, v28, v21
	v_and_b32_e32 v28, 0x7f800000, v21
	v_mov_b32_e32 v29, v43
	v_cmp_ne_u64_e32 vcc, s[46:47], v[28:29]
                                        ; implicit-def: $vgpr34
	s_and_saveexec_b64 s[18:19], vcc
	s_xor_b64 s[72:73], exec, s[18:19]
	s_cbranch_execz .LBB4_178
; %bb.165:                              ;   in Loop: Header=BB4_108 Depth=3
	v_and_b32_e32 v28, 0x7fffffff, v21
	v_mov_b32_e32 v29, v43
	v_cmp_gt_u64_e32 vcc, s[56:57], v[28:29]
	v_and_b32_sdwa v0, v21, s36 dst_sel:DWORD dst_unused:UNUSED_PAD src0_sel:BYTE_3 src1_sel:DWORD
                                        ; implicit-def: $vgpr34
	s_and_saveexec_b64 s[18:19], vcc
	s_xor_b64 s[74:75], exec, s[18:19]
	s_cbranch_execz .LBB4_175
; %bb.166:                              ;   in Loop: Header=BB4_108 Depth=3
	v_mov_b32_e32 v34, 0
	v_cmp_ne_u32_e32 vcc, 0, v21
	s_and_saveexec_b64 s[76:77], vcc
	s_cbranch_execz .LBB4_174
; %bb.167:                              ;   in Loop: Header=BB4_108 Depth=3
	v_and_b32_e32 v6, 0x7fffff, v21
	v_bfe_u32 v21, v21, 23, 8
	v_cmp_gt_u32_e64 s[18:19], s38, v21
	v_sub_u32_e32 v28, 0x79, v21
	v_cmp_eq_u32_e32 vcc, 0, v21
	v_cndmask_b32_e64 v28, 0, v28, s[18:19]
	v_or_b32_e32 v29, 0x800000, v6
	v_cndmask_b32_e32 v34, v28, v5, vcc
	v_cndmask_b32_e32 v28, v29, v6, vcc
	v_add_u32_e32 v6, 20, v34
	v_lshlrev_b64 v[30:31], v6, -1
	v_add_u32_e32 v6, 19, v34
	v_lshlrev_b64 v[58:59], v6, 1
	v_mov_b32_e32 v29, v43
	v_bfi_b32 v31, v31, 0, 0
	v_bfi_b32 v30, v30, 0, v28
	v_cmp_eq_u64_e64 s[18:19], v[30:31], v[58:59]
	v_lshrrev_b64 v[30:31], v34, v[28:29]
	v_mov_b32_e32 v28, v30
	v_mov_b32_e32 v29, v31
	s_and_saveexec_b64 s[78:79], s[18:19]
; %bb.168:                              ;   in Loop: Header=BB4_108 Depth=3
	v_bfe_u32 v6, v30, 20, 1
	v_add_co_u32_e64 v6, s[18:19], v30, v6
	v_add_co_u32_e64 v28, s[18:19], -1, v6
; %bb.169:                              ;   in Loop: Header=BB4_108 Depth=3
	s_or_b64 exec, exec, s[78:79]
	v_add_u32_e32 v6, 0xffffff81, v21
	v_cndmask_b32_e32 v6, v6, v8, vcc
	v_lshrrev_b32_e32 v21, 23, v30
	v_add3_u32 v29, v34, v6, v21
	v_add_u32_e32 v6, 6, v29
	v_and_b32_e32 v21, 0xfffff, v28
	v_add_u32_e32 v30, v21, v30
	v_mov_b32_e32 v31, v43
	v_cmp_ne_u32_e32 vcc, 0, v6
                                        ; implicit-def: $vgpr21
	s_and_saveexec_b64 s[18:19], vcc
	s_xor_b64 s[18:19], exec, s[18:19]
; %bb.170:                              ;   in Loop: Header=BB4_108 Depth=3
	v_cmp_lt_u64_e32 vcc, s[58:59], v[30:31]
	v_add_u32_e32 v21, 7, v29
	v_cndmask_b32_e32 v21, v6, v21, vcc
	v_cndmask_b32_e64 v6, 0, 1, vcc
	v_lshrrev_b64 v[30:31], v6, v[30:31]
; %bb.171:                              ;   in Loop: Header=BB4_108 Depth=3
	s_andn2_saveexec_b64 s[18:19], s[18:19]
; %bb.172:                              ;   in Loop: Header=BB4_108 Depth=3
	v_bfe_u32 v21, v30, 23, 1
; %bb.173:                              ;   in Loop: Header=BB4_108 Depth=3
	s_or_b64 exec, exec, s[18:19]
	v_lshrrev_b64 v[28:29], 20, v[30:31]
	v_cmp_gt_i32_e32 vcc, 16, v21
	v_cndmask_b32_e32 v29, 0, v29, vcc
	v_cndmask_b32_e32 v28, 7, v28, vcc
	v_min_i32_e32 v6, 15, v21
	v_cmp_eq_u64_e64 s[18:19], 0, v[28:29]
	v_lshlrev_b32_e32 v6, 3, v6
	v_cmp_eq_u32_e32 vcc, 0, v21
	v_and_b32_e32 v6, 0xf8, v6
	v_and_or_b32 v6, v28, 7, v6
	s_and_b64 s[18:19], vcc, s[18:19]
	v_cndmask_b32_e64 v6, v6, 0, s[18:19]
	v_or_b32_e32 v34, v6, v0
.LBB4_174:                              ;   in Loop: Header=BB4_108 Depth=3
	s_or_b64 exec, exec, s[76:77]
                                        ; implicit-def: $vgpr0
.LBB4_175:                              ;   in Loop: Header=BB4_108 Depth=3
	s_andn2_saveexec_b64 s[18:19], s[74:75]
; %bb.176:                              ;   in Loop: Header=BB4_108 Depth=3
	v_or_b32_e32 v34, 0x7e, v0
; %bb.177:                              ;   in Loop: Header=BB4_108 Depth=3
	s_or_b64 exec, exec, s[18:19]
                                        ; implicit-def: $vgpr21
.LBB4_178:                              ;   in Loop: Header=BB4_108 Depth=3
	s_andn2_saveexec_b64 s[18:19], s[72:73]
; %bb.179:                              ;   in Loop: Header=BB4_108 Depth=3
	v_or_b32_sdwa v34, v21, s37 dst_sel:DWORD dst_unused:UNUSED_PAD src0_sel:BYTE_3 src1_sel:DWORD
; %bb.180:                              ;   in Loop: Header=BB4_108 Depth=3
	s_or_b64 exec, exec, s[18:19]
	v_lshrrev_b32_e32 v0, 16, v20
	v_cmp_ne_u16_sdwa s[72:73], v0, v43 src0_sel:BYTE_0 src1_sel:DWORD
	v_mov_b32_e32 v21, 0
	v_mov_b32_e32 v28, 0
	s_and_saveexec_b64 s[18:19], s[72:73]
	s_cbranch_execz .LBB4_186
; %bb.181:                              ;   in Loop: Header=BB4_108 Depth=3
	v_cmp_ne_u16_sdwa s[74:75], v0, s36 src0_sel:BYTE_0 src1_sel:DWORD
	v_bfrev_b32_e32 v28, 1
	s_and_saveexec_b64 s[72:73], s[74:75]
	s_cbranch_execz .LBB4_185
; %bb.182:                              ;   in Loop: Header=BB4_108 Depth=3
	v_bfe_u32 v6, v20, 16, 7
	v_cmp_ne_u32_e32 vcc, s37, v6
	v_mov_b32_e32 v28, 0x7f800001
	s_and_saveexec_b64 s[74:75], vcc
	s_cbranch_execz .LBB4_184
; %bb.183:                              ;   in Loop: Header=BB4_108 Depth=3
	v_and_b32_e32 v30, 7, v0
	v_lshrrev_b32_e32 v31, 3, v6
	v_cmp_gt_u32_e32 vcc, 8, v6
	v_ffbh_u32_e32 v6, v30
	v_min_u32_e32 v6, 32, v6
	v_subrev_u32_e32 v28, 28, v6
	v_lshlrev_b64 v[28:29], v28, v[0:1]
	v_sub_u32_e32 v6, 29, v6
	v_and_b32_e32 v28, 7, v28
	v_cndmask_b32_e32 v6, v31, v6, vcc
	v_cndmask_b32_e32 v28, v30, v28, vcc
	v_lshlrev_b32_e32 v0, 24, v0
	v_lshlrev_b32_e32 v28, 20, v28
	v_and_b32_e32 v0, 0x80000000, v0
	v_lshl_add_u32 v6, v6, 23, v27
	v_or3_b32 v28, v0, v6, v28
.LBB4_184:                              ;   in Loop: Header=BB4_108 Depth=3
	s_or_b64 exec, exec, s[74:75]
.LBB4_185:                              ;   in Loop: Header=BB4_108 Depth=3
	s_or_b64 exec, exec, s[72:73]
.LBB4_186:                              ;   in Loop: Header=BB4_108 Depth=3
	s_or_b64 exec, exec, s[18:19]
	v_and_b32_sdwa v6, v42, s35 dst_sel:DWORD dst_unused:UNUSED_PAD src0_sel:WORD_1 src1_sel:DWORD
	v_lshrrev_b32_e32 v0, 16, v42
	v_cmp_ne_u16_e32 vcc, 0, v6
	s_and_saveexec_b64 s[18:19], vcc
	s_cbranch_execz .LBB4_192
; %bb.187:                              ;   in Loop: Header=BB4_108 Depth=3
	v_cmp_ne_u16_e32 vcc, s36, v6
	v_bfrev_b32_e32 v21, 1
	s_and_saveexec_b64 s[72:73], vcc
	s_cbranch_execz .LBB4_191
; %bb.188:                              ;   in Loop: Header=BB4_108 Depth=3
	v_bfe_u32 v6, v42, 16, 7
	v_cmp_ne_u32_e32 vcc, s37, v6
	v_mov_b32_e32 v21, 0x7f800001
	s_and_saveexec_b64 s[74:75], vcc
	s_cbranch_execz .LBB4_190
; %bb.189:                              ;   in Loop: Header=BB4_108 Depth=3
	v_and_b32_e32 v21, 7, v0
	v_lshrrev_b32_e32 v31, 3, v6
	v_cmp_gt_u32_e32 vcc, 8, v6
	v_ffbh_u32_e32 v6, v21
	v_min_u32_e32 v6, 32, v6
	v_subrev_u32_e32 v29, 28, v6
	v_lshlrev_b64 v[29:30], v29, v[0:1]
	v_sub_u32_e32 v0, 29, v6
	v_and_b32_e32 v6, 7, v29
	v_cndmask_b32_e32 v0, v31, v0, vcc
	v_cndmask_b32_e32 v6, v21, v6, vcc
	v_lshlrev_b32_e32 v21, 8, v42
	v_lshlrev_b32_e32 v6, 20, v6
	v_and_b32_e32 v21, 0x80000000, v21
	v_lshl_add_u32 v0, v0, 23, v27
	v_or3_b32 v21, v21, v0, v6
.LBB4_190:                              ;   in Loop: Header=BB4_108 Depth=3
	s_or_b64 exec, exec, s[74:75]
.LBB4_191:                              ;   in Loop: Header=BB4_108 Depth=3
	s_or_b64 exec, exec, s[72:73]
.LBB4_192:                              ;   in Loop: Header=BB4_108 Depth=3
	s_or_b64 exec, exec, s[18:19]
	v_mul_f32_e32 v21, v28, v21
	v_and_b32_e32 v28, 0x7f800000, v21
	v_mov_b32_e32 v29, v43
	v_cmp_ne_u64_e32 vcc, s[46:47], v[28:29]
                                        ; implicit-def: $vgpr30
	s_and_saveexec_b64 s[18:19], vcc
	s_xor_b64 s[72:73], exec, s[18:19]
	s_cbranch_execz .LBB4_206
; %bb.193:                              ;   in Loop: Header=BB4_108 Depth=3
	v_and_b32_e32 v28, 0x7fffffff, v21
	v_mov_b32_e32 v29, v43
	v_cmp_gt_u64_e32 vcc, s[56:57], v[28:29]
	v_and_b32_sdwa v0, v21, s36 dst_sel:DWORD dst_unused:UNUSED_PAD src0_sel:BYTE_3 src1_sel:DWORD
                                        ; implicit-def: $vgpr30
	s_and_saveexec_b64 s[18:19], vcc
	s_xor_b64 s[74:75], exec, s[18:19]
	s_cbranch_execz .LBB4_203
; %bb.194:                              ;   in Loop: Header=BB4_108 Depth=3
	v_mov_b32_e32 v30, 0
	v_cmp_ne_u32_e32 vcc, 0, v21
	s_and_saveexec_b64 s[76:77], vcc
	s_cbranch_execz .LBB4_202
; %bb.195:                              ;   in Loop: Header=BB4_108 Depth=3
	v_and_b32_e32 v28, 0x7fffff, v21
	v_bfe_u32 v21, v21, 23, 8
	v_cmp_gt_u32_e64 s[18:19], s38, v21
	v_sub_u32_e32 v6, 0x79, v21
	v_cmp_eq_u32_e32 vcc, 0, v21
	v_cndmask_b32_e64 v6, 0, v6, s[18:19]
	v_cndmask_b32_e32 v6, v6, v5, vcc
	v_add_u32_e32 v30, 20, v6
	v_or_b32_e32 v29, 0x800000, v28
	v_lshlrev_b64 v[30:31], v30, -1
	v_add_u32_e32 v58, 19, v6
	v_cndmask_b32_e32 v28, v29, v28, vcc
	v_lshlrev_b64 v[58:59], v58, 1
	v_mov_b32_e32 v29, v43
	v_bfi_b32 v31, v31, 0, 0
	v_bfi_b32 v30, v30, 0, v28
	v_cmp_eq_u64_e64 s[18:19], v[30:31], v[58:59]
	v_lshrrev_b64 v[30:31], v6, v[28:29]
	v_mov_b32_e32 v28, v30
	v_mov_b32_e32 v29, v31
	s_and_saveexec_b64 s[78:79], s[18:19]
; %bb.196:                              ;   in Loop: Header=BB4_108 Depth=3
	v_bfe_u32 v28, v30, 20, 1
	v_add_co_u32_e64 v28, s[18:19], v30, v28
	v_add_co_u32_e64 v28, s[18:19], -1, v28
; %bb.197:                              ;   in Loop: Header=BB4_108 Depth=3
	s_or_b64 exec, exec, s[78:79]
	v_add_u32_e32 v21, 0xffffff81, v21
	v_cndmask_b32_e32 v21, v21, v8, vcc
	v_lshrrev_b32_e32 v29, 23, v30
	v_add3_u32 v29, v6, v21, v29
	v_add_u32_e32 v6, 6, v29
	v_and_b32_e32 v21, 0xfffff, v28
	v_add_u32_e32 v30, v21, v30
	v_mov_b32_e32 v31, v43
	v_cmp_ne_u32_e32 vcc, 0, v6
                                        ; implicit-def: $vgpr21
	s_and_saveexec_b64 s[18:19], vcc
	s_xor_b64 s[18:19], exec, s[18:19]
; %bb.198:                              ;   in Loop: Header=BB4_108 Depth=3
	v_cmp_lt_u64_e32 vcc, s[58:59], v[30:31]
	v_add_u32_e32 v21, 7, v29
	v_cndmask_b32_e32 v21, v6, v21, vcc
	v_cndmask_b32_e64 v6, 0, 1, vcc
	v_lshrrev_b64 v[30:31], v6, v[30:31]
; %bb.199:                              ;   in Loop: Header=BB4_108 Depth=3
	s_andn2_saveexec_b64 s[18:19], s[18:19]
; %bb.200:                              ;   in Loop: Header=BB4_108 Depth=3
	v_bfe_u32 v21, v30, 23, 1
; %bb.201:                              ;   in Loop: Header=BB4_108 Depth=3
	s_or_b64 exec, exec, s[18:19]
	v_lshrrev_b64 v[28:29], 20, v[30:31]
	v_cmp_gt_i32_e32 vcc, 16, v21
	v_cndmask_b32_e32 v29, 0, v29, vcc
	v_cndmask_b32_e32 v28, 7, v28, vcc
	v_min_i32_e32 v6, 15, v21
	v_cmp_eq_u64_e64 s[18:19], 0, v[28:29]
	v_lshlrev_b32_e32 v6, 3, v6
	v_cmp_eq_u32_e32 vcc, 0, v21
	v_and_b32_e32 v6, 0xf8, v6
	v_and_or_b32 v6, v28, 7, v6
	s_and_b64 s[18:19], vcc, s[18:19]
	v_cndmask_b32_e64 v6, v6, 0, s[18:19]
	v_or_b32_e32 v30, v6, v0
.LBB4_202:                              ;   in Loop: Header=BB4_108 Depth=3
	s_or_b64 exec, exec, s[76:77]
                                        ; implicit-def: $vgpr0
.LBB4_203:                              ;   in Loop: Header=BB4_108 Depth=3
	s_andn2_saveexec_b64 s[18:19], s[74:75]
; %bb.204:                              ;   in Loop: Header=BB4_108 Depth=3
	v_or_b32_e32 v30, 0x7e, v0
; %bb.205:                              ;   in Loop: Header=BB4_108 Depth=3
	s_or_b64 exec, exec, s[18:19]
                                        ; implicit-def: $vgpr21
.LBB4_206:                              ;   in Loop: Header=BB4_108 Depth=3
	s_andn2_saveexec_b64 s[18:19], s[72:73]
; %bb.207:                              ;   in Loop: Header=BB4_108 Depth=3
	v_or_b32_sdwa v30, v21, s37 dst_sel:DWORD dst_unused:UNUSED_PAD src0_sel:BYTE_3 src1_sel:DWORD
; %bb.208:                              ;   in Loop: Header=BB4_108 Depth=3
	s_or_b64 exec, exec, s[18:19]
	v_cmp_lt_u32_e32 vcc, s39, v20
	v_mov_b32_e32 v21, 0
	v_mov_b32_e32 v28, 0
	s_and_saveexec_b64 s[18:19], vcc
	s_cbranch_execz .LBB4_214
; %bb.209:                              ;   in Loop: Header=BB4_108 Depth=3
	v_lshrrev_b32_e32 v0, 24, v20
	v_cmp_ne_u32_e32 vcc, s36, v0
	v_bfrev_b32_e32 v28, 1
	s_and_saveexec_b64 s[72:73], vcc
	s_cbranch_execz .LBB4_213
; %bb.210:                              ;   in Loop: Header=BB4_108 Depth=3
	v_bfe_u32 v6, v20, 24, 7
	v_cmp_ne_u32_e32 vcc, s37, v6
	v_mov_b32_e32 v28, 0x7f800001
	s_and_saveexec_b64 s[74:75], vcc
	s_cbranch_execz .LBB4_212
; %bb.211:                              ;   in Loop: Header=BB4_108 Depth=3
	v_and_b32_e32 v20, 7, v0
	v_lshrrev_b32_e32 v31, 3, v6
	v_cmp_gt_u32_e32 vcc, 8, v6
	v_ffbh_u32_e32 v6, v20
	v_min_u32_e32 v6, 32, v6
	v_subrev_u32_e32 v28, 28, v6
	v_lshlrev_b64 v[28:29], v28, v[0:1]
	v_sub_u32_e32 v6, 29, v6
	v_and_b32_e32 v28, 7, v28
	v_cndmask_b32_e32 v6, v31, v6, vcc
	v_cndmask_b32_e32 v20, v20, v28, vcc
	v_lshlrev_b32_e32 v0, 24, v0
	v_lshlrev_b32_e32 v20, 20, v20
	v_and_b32_e32 v0, 0x80000000, v0
	v_lshl_add_u32 v6, v6, 23, v27
	v_or3_b32 v28, v0, v6, v20
.LBB4_212:                              ;   in Loop: Header=BB4_108 Depth=3
	s_or_b64 exec, exec, s[74:75]
.LBB4_213:                              ;   in Loop: Header=BB4_108 Depth=3
	s_or_b64 exec, exec, s[72:73]
.LBB4_214:                              ;   in Loop: Header=BB4_108 Depth=3
	s_or_b64 exec, exec, s[18:19]
	v_cmp_lt_u32_e32 vcc, s39, v42
	s_and_saveexec_b64 s[18:19], vcc
	s_cbranch_execz .LBB4_220
; %bb.215:                              ;   in Loop: Header=BB4_108 Depth=3
	v_lshrrev_b32_e32 v0, 24, v42
	v_cmp_ne_u32_sdwa s[74:75], v42, s36 src0_sel:BYTE_3 src1_sel:DWORD
	v_bfrev_b32_e32 v21, 1
	s_and_saveexec_b64 s[72:73], s[74:75]
	s_cbranch_execz .LBB4_219
; %bb.216:                              ;   in Loop: Header=BB4_108 Depth=3
	v_bfe_u32 v6, v42, 24, 7
	v_cmp_ne_u32_e32 vcc, s37, v6
	v_mov_b32_e32 v21, 0x7f800001
	s_and_saveexec_b64 s[74:75], vcc
	s_cbranch_execz .LBB4_218
; %bb.217:                              ;   in Loop: Header=BB4_108 Depth=3
	v_and_b32_e32 v29, 7, v0
	v_lshrrev_b32_e32 v31, 3, v6
	v_cmp_gt_u32_e32 vcc, 8, v6
	v_ffbh_u32_e32 v6, v29
	v_min_u32_e32 v6, 32, v6
	v_subrev_u32_e32 v20, 28, v6
	v_lshlrev_b64 v[20:21], v20, v[0:1]
	v_sub_u32_e32 v0, 29, v6
	v_and_b32_e32 v6, 7, v20
	v_cndmask_b32_e32 v0, v31, v0, vcc
	v_cndmask_b32_e32 v6, v29, v6, vcc
	v_lshlrev_b32_sdwa v20, v9, v42 dst_sel:DWORD dst_unused:UNUSED_PAD src0_sel:DWORD src1_sel:BYTE_3
	v_lshlrev_b32_e32 v6, 20, v6
	v_and_b32_e32 v20, 0x80000000, v20
	v_lshl_add_u32 v0, v0, 23, v27
	v_or3_b32 v21, v20, v0, v6
.LBB4_218:                              ;   in Loop: Header=BB4_108 Depth=3
	s_or_b64 exec, exec, s[74:75]
.LBB4_219:                              ;   in Loop: Header=BB4_108 Depth=3
	s_or_b64 exec, exec, s[72:73]
.LBB4_220:                              ;   in Loop: Header=BB4_108 Depth=3
	s_or_b64 exec, exec, s[18:19]
	v_mul_f32_e32 v20, v28, v21
	v_and_b32_e32 v42, 0x7f800000, v20
	v_cmp_ne_u64_e32 vcc, s[46:47], v[42:43]
                                        ; implicit-def: $vgpr31
	s_and_saveexec_b64 s[18:19], vcc
	s_xor_b64 s[72:73], exec, s[18:19]
	s_cbranch_execz .LBB4_234
; %bb.221:                              ;   in Loop: Header=BB4_108 Depth=3
	v_and_b32_e32 v42, 0x7fffffff, v20
	v_cmp_gt_u64_e32 vcc, s[56:57], v[42:43]
	v_and_b32_sdwa v0, v20, s36 dst_sel:DWORD dst_unused:UNUSED_PAD src0_sel:BYTE_3 src1_sel:DWORD
                                        ; implicit-def: $vgpr31
	s_and_saveexec_b64 s[18:19], vcc
	s_xor_b64 s[74:75], exec, s[18:19]
	s_cbranch_execz .LBB4_231
; %bb.222:                              ;   in Loop: Header=BB4_108 Depth=3
	v_mov_b32_e32 v31, 0
	v_cmp_ne_u32_e32 vcc, 0, v20
	s_and_saveexec_b64 s[76:77], vcc
	s_cbranch_execz .LBB4_230
; %bb.223:                              ;   in Loop: Header=BB4_108 Depth=3
	v_bfe_u32 v31, v20, 23, 8
	v_cmp_gt_u32_e64 s[18:19], s38, v31
	v_sub_u32_e32 v6, 0x79, v31
	v_and_b32_e32 v21, 0x7fffff, v20
	v_cmp_eq_u32_e32 vcc, 0, v31
	v_cndmask_b32_e64 v6, 0, v6, s[18:19]
	v_or_b32_e32 v20, 0x800000, v21
	v_cndmask_b32_e32 v6, v6, v5, vcc
	v_cndmask_b32_e32 v42, v20, v21, vcc
	v_add_u32_e32 v20, 20, v6
	v_lshlrev_b64 v[20:21], v20, -1
	v_add_u32_e32 v28, 19, v6
	v_lshlrev_b64 v[28:29], v28, 1
	v_bfi_b32 v21, v21, 0, 0
	v_bfi_b32 v20, v20, 0, v42
	v_cmp_eq_u64_e64 s[18:19], v[20:21], v[28:29]
	v_lshrrev_b64 v[20:21], v6, v[42:43]
	v_mov_b32_e32 v29, v21
	v_mov_b32_e32 v28, v20
	s_and_saveexec_b64 s[78:79], s[18:19]
; %bb.224:                              ;   in Loop: Header=BB4_108 Depth=3
	v_bfe_u32 v21, v20, 20, 1
	v_add_co_u32_e64 v21, s[18:19], v20, v21
	v_add_co_u32_e64 v28, s[18:19], -1, v21
; %bb.225:                              ;   in Loop: Header=BB4_108 Depth=3
	s_or_b64 exec, exec, s[78:79]
	v_add_u32_e32 v21, 0xffffff81, v31
	v_cndmask_b32_e32 v21, v21, v8, vcc
	v_lshrrev_b32_e32 v29, 23, v20
	v_add3_u32 v29, v6, v21, v29
	v_add_u32_e32 v6, 6, v29
	v_and_b32_e32 v21, 0xfffff, v28
	v_add_u32_e32 v42, v21, v20
	v_cmp_ne_u32_e32 vcc, 0, v6
                                        ; implicit-def: $vgpr20_vgpr21
                                        ; implicit-def: $vgpr28
	s_and_saveexec_b64 s[18:19], vcc
	s_xor_b64 s[18:19], exec, s[18:19]
; %bb.226:                              ;   in Loop: Header=BB4_108 Depth=3
	v_cmp_lt_u64_e32 vcc, s[58:59], v[42:43]
	v_add_u32_e32 v20, 7, v29
	v_cndmask_b32_e32 v28, v6, v20, vcc
	v_cndmask_b32_e64 v6, 0, 1, vcc
	v_lshrrev_b64 v[20:21], v6, v[42:43]
; %bb.227:                              ;   in Loop: Header=BB4_108 Depth=3
	s_andn2_saveexec_b64 s[18:19], s[18:19]
; %bb.228:                              ;   in Loop: Header=BB4_108 Depth=3
	v_mov_b32_e32 v20, v42
	v_bfe_u32 v28, v42, 23, 1
	v_mov_b32_e32 v21, v43
; %bb.229:                              ;   in Loop: Header=BB4_108 Depth=3
	s_or_b64 exec, exec, s[18:19]
	v_lshrrev_b64 v[20:21], 20, v[20:21]
	v_cmp_gt_i32_e32 vcc, 16, v28
	v_cndmask_b32_e32 v21, 0, v21, vcc
	v_cndmask_b32_e32 v20, 7, v20, vcc
	v_min_i32_e32 v6, 15, v28
	v_cmp_eq_u64_e64 s[18:19], 0, v[20:21]
	v_lshlrev_b32_e32 v6, 3, v6
	v_cmp_eq_u32_e32 vcc, 0, v28
	v_and_b32_e32 v6, 0xf8, v6
	v_and_or_b32 v6, v20, 7, v6
	s_and_b64 s[18:19], vcc, s[18:19]
	v_cndmask_b32_e64 v6, v6, 0, s[18:19]
	v_or_b32_e32 v31, v6, v0
.LBB4_230:                              ;   in Loop: Header=BB4_108 Depth=3
	s_or_b64 exec, exec, s[76:77]
                                        ; implicit-def: $vgpr0
.LBB4_231:                              ;   in Loop: Header=BB4_108 Depth=3
	s_andn2_saveexec_b64 s[18:19], s[74:75]
; %bb.232:                              ;   in Loop: Header=BB4_108 Depth=3
	v_or_b32_e32 v31, 0x7e, v0
; %bb.233:                              ;   in Loop: Header=BB4_108 Depth=3
	s_or_b64 exec, exec, s[18:19]
                                        ; implicit-def: $vgpr20
.LBB4_234:                              ;   in Loop: Header=BB4_108 Depth=3
	s_andn2_saveexec_b64 s[18:19], s[72:73]
; %bb.235:                              ;   in Loop: Header=BB4_108 Depth=3
	v_or_b32_sdwa v31, v20, s37 dst_sel:DWORD dst_unused:UNUSED_PAD src0_sel:BYTE_3 src1_sel:DWORD
; %bb.236:                              ;   in Loop: Header=BB4_108 Depth=3
	s_or_b64 exec, exec, s[18:19]
	v_cmp_ne_u16_sdwa s[72:73], v22, v43 src0_sel:BYTE_0 src1_sel:DWORD
	v_mov_b32_e32 v0, 0
	v_mov_b32_e32 v20, 0
	s_and_saveexec_b64 s[18:19], s[72:73]
	s_cbranch_execz .LBB4_242
; %bb.237:                              ;   in Loop: Header=BB4_108 Depth=3
	v_cmp_ne_u16_sdwa s[74:75], v22, s36 src0_sel:BYTE_0 src1_sel:DWORD
	v_bfrev_b32_e32 v20, 1
	s_and_saveexec_b64 s[72:73], s[74:75]
	s_cbranch_execz .LBB4_241
; %bb.238:                              ;   in Loop: Header=BB4_108 Depth=3
	v_and_b32_e32 v6, 0x7f, v22
	v_cmp_ne_u32_e32 vcc, s37, v6
	v_mov_b32_e32 v20, 0x7f800001
	s_and_saveexec_b64 s[74:75], vcc
	s_cbranch_execz .LBB4_240
; %bb.239:                              ;   in Loop: Header=BB4_108 Depth=3
	v_and_b32_e32 v20, 7, v22
	v_lshrrev_b32_e32 v21, 3, v6
	v_cmp_gt_u32_e32 vcc, 8, v6
	v_ffbh_u32_e32 v6, v20
	v_min_u32_e32 v6, 32, v6
	v_subrev_u32_e32 v20, 28, v6
	v_sub_u32_e32 v6, 29, v6
	v_cndmask_b32_e32 v20, 0, v20, vcc
	v_cndmask_b32_e32 v6, v21, v6, vcc
	v_lshlrev_b64 v[20:21], v20, v[22:23]
	v_lshlrev_b32_e32 v21, 24, v22
	v_lshlrev_b32_e32 v20, 20, v20
	v_and_b32_e32 v20, 0x700000, v20
	v_and_b32_e32 v21, 0x80000000, v21
	v_lshl_add_u32 v6, v6, 23, v27
	v_or3_b32 v20, v21, v6, v20
.LBB4_240:                              ;   in Loop: Header=BB4_108 Depth=3
	s_or_b64 exec, exec, s[74:75]
.LBB4_241:                              ;   in Loop: Header=BB4_108 Depth=3
	s_or_b64 exec, exec, s[72:73]
.LBB4_242:                              ;   in Loop: Header=BB4_108 Depth=3
	s_or_b64 exec, exec, s[18:19]
	v_alignbit_b32 v42, v35, v46, v47
	v_cmp_ne_u16_sdwa s[72:73], v42, v43 src0_sel:BYTE_0 src1_sel:DWORD
	s_and_saveexec_b64 s[18:19], s[72:73]
	s_cbranch_execz .LBB4_248
; %bb.243:                              ;   in Loop: Header=BB4_108 Depth=3
	v_cmp_ne_u16_sdwa s[74:75], v42, s36 src0_sel:BYTE_0 src1_sel:DWORD
	v_bfrev_b32_e32 v0, 1
	s_and_saveexec_b64 s[72:73], s[74:75]
	s_cbranch_execz .LBB4_247
; %bb.244:                              ;   in Loop: Header=BB4_108 Depth=3
	v_and_b32_e32 v6, 0x7f, v42
	v_cmp_ne_u32_e32 vcc, s37, v6
	v_mov_b32_e32 v0, 0x7f800001
	s_and_saveexec_b64 s[74:75], vcc
	s_cbranch_execz .LBB4_246
; %bb.245:                              ;   in Loop: Header=BB4_108 Depth=3
	v_and_b32_e32 v0, 7, v42
	v_ffbh_u32_e32 v0, v0
	v_min_u32_e32 v0, 32, v0
	v_lshrrev_b32_e32 v21, 3, v6
	v_cmp_gt_u32_e32 vcc, 8, v6
	v_subrev_u32_e32 v6, 28, v0
	v_cndmask_b32_e32 v6, 0, v6, vcc
	v_lshlrev_b64 v[28:29], v6, v[42:43]
	v_sub_u32_e32 v0, 29, v0
	v_cndmask_b32_e32 v0, v21, v0, vcc
	v_lshlrev_b32_e32 v6, 20, v28
	v_lshlrev_b32_e32 v21, 24, v42
	v_and_b32_e32 v6, 0x700000, v6
	v_and_b32_e32 v21, 0x80000000, v21
	v_lshl_add_u32 v0, v0, 23, v27
	v_or3_b32 v0, v21, v0, v6
.LBB4_246:                              ;   in Loop: Header=BB4_108 Depth=3
	s_or_b64 exec, exec, s[74:75]
.LBB4_247:                              ;   in Loop: Header=BB4_108 Depth=3
	s_or_b64 exec, exec, s[72:73]
.LBB4_248:                              ;   in Loop: Header=BB4_108 Depth=3
	s_or_b64 exec, exec, s[18:19]
	v_mul_f32_e32 v20, v20, v0
	v_and_b32_e32 v28, 0x7f800000, v20
	v_mov_b32_e32 v29, v43
	v_cmp_ne_u64_e32 vcc, s[46:47], v[28:29]
                                        ; implicit-def: $vgpr23
	s_and_saveexec_b64 s[18:19], vcc
	s_xor_b64 s[72:73], exec, s[18:19]
	s_cbranch_execz .LBB4_262
; %bb.249:                              ;   in Loop: Header=BB4_108 Depth=3
	v_and_b32_e32 v28, 0x7fffffff, v20
	v_mov_b32_e32 v29, v43
	v_cmp_gt_u64_e32 vcc, s[56:57], v[28:29]
	v_and_b32_sdwa v0, v20, s36 dst_sel:DWORD dst_unused:UNUSED_PAD src0_sel:BYTE_3 src1_sel:DWORD
                                        ; implicit-def: $vgpr23
	s_and_saveexec_b64 s[18:19], vcc
	s_xor_b64 s[74:75], exec, s[18:19]
	s_cbranch_execz .LBB4_259
; %bb.250:                              ;   in Loop: Header=BB4_108 Depth=3
	v_mov_b32_e32 v23, 0
	v_cmp_ne_u32_e32 vcc, 0, v20
	s_and_saveexec_b64 s[76:77], vcc
	s_cbranch_execz .LBB4_258
; %bb.251:                              ;   in Loop: Header=BB4_108 Depth=3
	v_bfe_u32 v23, v20, 23, 8
	v_cmp_gt_u32_e64 s[18:19], s38, v23
	v_sub_u32_e32 v6, 0x79, v23
	v_cmp_eq_u32_e32 vcc, 0, v23
	v_cndmask_b32_e64 v6, 0, v6, s[18:19]
	v_cndmask_b32_e32 v6, v6, v5, vcc
	v_and_b32_e32 v21, 0x7fffff, v20
	v_add_u32_e32 v28, 20, v6
	v_or_b32_e32 v20, 0x800000, v21
	v_lshlrev_b64 v[28:29], v28, -1
	v_cndmask_b32_e32 v20, v20, v21, vcc
	v_mov_b32_e32 v21, v43
	v_add_u32_e32 v35, 19, v6
	v_bfi_b32 v28, v28, 0, v20
	v_lshlrev_b64 v[46:47], v35, 1
	v_lshrrev_b64 v[20:21], v6, v[20:21]
	v_bfi_b32 v29, v29, 0, 0
	v_cmp_eq_u64_e64 s[18:19], v[28:29], v[46:47]
	v_mov_b32_e32 v29, v21
	v_mov_b32_e32 v28, v20
	s_and_saveexec_b64 s[78:79], s[18:19]
; %bb.252:                              ;   in Loop: Header=BB4_108 Depth=3
	v_bfe_u32 v21, v20, 20, 1
	v_add_co_u32_e64 v21, s[18:19], v20, v21
	v_add_co_u32_e64 v28, s[18:19], -1, v21
; %bb.253:                              ;   in Loop: Header=BB4_108 Depth=3
	s_or_b64 exec, exec, s[78:79]
	v_add_u32_e32 v21, 0xffffff81, v23
	v_cndmask_b32_e32 v21, v21, v8, vcc
	v_lshrrev_b32_e32 v23, 23, v20
	v_add3_u32 v29, v6, v21, v23
	v_add_u32_e32 v6, 6, v29
	v_and_b32_e32 v21, 0xfffff, v28
	v_add_u32_e32 v20, v21, v20
	v_mov_b32_e32 v21, v43
	v_cmp_ne_u32_e32 vcc, 0, v6
                                        ; implicit-def: $vgpr23
	s_and_saveexec_b64 s[18:19], vcc
	s_xor_b64 s[18:19], exec, s[18:19]
; %bb.254:                              ;   in Loop: Header=BB4_108 Depth=3
	v_cmp_lt_u64_e32 vcc, s[58:59], v[20:21]
	v_add_u32_e32 v23, 7, v29
	v_cndmask_b32_e32 v23, v6, v23, vcc
	v_cndmask_b32_e64 v6, 0, 1, vcc
	v_lshrrev_b64 v[20:21], v6, v[20:21]
; %bb.255:                              ;   in Loop: Header=BB4_108 Depth=3
	s_andn2_saveexec_b64 s[18:19], s[18:19]
; %bb.256:                              ;   in Loop: Header=BB4_108 Depth=3
	v_bfe_u32 v23, v20, 23, 1
; %bb.257:                              ;   in Loop: Header=BB4_108 Depth=3
	s_or_b64 exec, exec, s[18:19]
	v_lshrrev_b64 v[20:21], 20, v[20:21]
	v_cmp_gt_i32_e32 vcc, 16, v23
	v_cndmask_b32_e32 v21, 0, v21, vcc
	v_cndmask_b32_e32 v20, 7, v20, vcc
	v_min_i32_e32 v6, 15, v23
	v_cmp_eq_u64_e64 s[18:19], 0, v[20:21]
	v_lshlrev_b32_e32 v6, 3, v6
	v_cmp_eq_u32_e32 vcc, 0, v23
	v_and_b32_e32 v6, 0xf8, v6
	v_and_or_b32 v6, v20, 7, v6
	s_and_b64 s[18:19], vcc, s[18:19]
	v_cndmask_b32_e64 v6, v6, 0, s[18:19]
	v_or_b32_e32 v23, v6, v0
.LBB4_258:                              ;   in Loop: Header=BB4_108 Depth=3
	s_or_b64 exec, exec, s[76:77]
                                        ; implicit-def: $vgpr0
.LBB4_259:                              ;   in Loop: Header=BB4_108 Depth=3
	s_andn2_saveexec_b64 s[18:19], s[74:75]
; %bb.260:                              ;   in Loop: Header=BB4_108 Depth=3
	v_or_b32_e32 v23, 0x7e, v0
; %bb.261:                              ;   in Loop: Header=BB4_108 Depth=3
	s_or_b64 exec, exec, s[18:19]
                                        ; implicit-def: $vgpr20
.LBB4_262:                              ;   in Loop: Header=BB4_108 Depth=3
	s_andn2_saveexec_b64 s[18:19], s[72:73]
; %bb.263:                              ;   in Loop: Header=BB4_108 Depth=3
	v_or_b32_sdwa v23, v20, s37 dst_sel:DWORD dst_unused:UNUSED_PAD src0_sel:BYTE_3 src1_sel:DWORD
; %bb.264:                              ;   in Loop: Header=BB4_108 Depth=3
	s_or_b64 exec, exec, s[18:19]
	v_lshrrev_b16_e32 v0, 8, v22
	v_cmp_ne_u16_e32 vcc, 0, v0
	v_mov_b32_e32 v20, 0
	v_mov_b32_e32 v21, 0
	s_and_saveexec_b64 s[18:19], vcc
	s_cbranch_execz .LBB4_270
; %bb.265:                              ;   in Loop: Header=BB4_108 Depth=3
	v_cmp_ne_u16_e32 vcc, s36, v0
	v_bfrev_b32_e32 v21, 1
	s_and_saveexec_b64 s[72:73], vcc
	s_cbranch_execz .LBB4_269
; %bb.266:                              ;   in Loop: Header=BB4_108 Depth=3
	v_and_b32_e32 v6, 0x7f, v0
	v_cmp_ne_u32_e32 vcc, s37, v6
	v_mov_b32_e32 v21, 0x7f800001
	s_and_saveexec_b64 s[74:75], vcc
	s_cbranch_execz .LBB4_268
; %bb.267:                              ;   in Loop: Header=BB4_108 Depth=3
	v_and_b32_e32 v21, 7, v0
	v_lshrrev_b32_e32 v35, 3, v6
	v_cmp_gt_u32_e32 vcc, 8, v6
	v_ffbh_u32_e32 v6, v21
	v_min_u32_e32 v6, 32, v6
	v_subrev_u32_e32 v28, 28, v6
	v_lshlrev_b64 v[28:29], v28, v[0:1]
	v_sub_u32_e32 v0, 29, v6
	v_and_b32_e32 v6, 7, v28
	v_cndmask_b32_e32 v0, v35, v0, vcc
	v_cndmask_b32_e32 v6, v21, v6, vcc
	v_lshlrev_b32_e32 v21, 16, v22
	v_lshlrev_b32_e32 v6, 20, v6
	v_and_b32_e32 v21, 0x80000000, v21
	v_lshl_add_u32 v0, v0, 23, v27
	v_or3_b32 v21, v21, v0, v6
.LBB4_268:                              ;   in Loop: Header=BB4_108 Depth=3
	s_or_b64 exec, exec, s[74:75]
.LBB4_269:                              ;   in Loop: Header=BB4_108 Depth=3
	s_or_b64 exec, exec, s[72:73]
.LBB4_270:                              ;   in Loop: Header=BB4_108 Depth=3
	s_or_b64 exec, exec, s[18:19]
	v_lshrrev_b16_e32 v0, 8, v42
	v_cmp_ne_u16_e32 vcc, 0, v0
	s_and_saveexec_b64 s[18:19], vcc
	s_cbranch_execz .LBB4_276
; %bb.271:                              ;   in Loop: Header=BB4_108 Depth=3
	v_cmp_ne_u16_e32 vcc, s36, v0
	v_bfrev_b32_e32 v20, 1
	s_and_saveexec_b64 s[72:73], vcc
	s_cbranch_execz .LBB4_275
; %bb.272:                              ;   in Loop: Header=BB4_108 Depth=3
	v_and_b32_e32 v6, 0x7f, v0
	v_cmp_ne_u32_e32 vcc, s37, v6
	v_mov_b32_e32 v20, 0x7f800001
	s_and_saveexec_b64 s[74:75], vcc
	s_cbranch_execz .LBB4_274
; %bb.273:                              ;   in Loop: Header=BB4_108 Depth=3
	v_and_b32_e32 v20, 7, v0
	v_lshrrev_b32_e32 v35, 3, v6
	v_cmp_gt_u32_e32 vcc, 8, v6
	v_ffbh_u32_e32 v6, v20
	v_min_u32_e32 v6, 32, v6
	v_subrev_u32_e32 v28, 28, v6
	v_lshlrev_b64 v[28:29], v28, v[0:1]
	v_sub_u32_e32 v0, 29, v6
	v_and_b32_e32 v6, 7, v28
	v_cndmask_b32_e32 v0, v35, v0, vcc
	v_cndmask_b32_e32 v6, v20, v6, vcc
	v_lshlrev_b32_e32 v20, 16, v42
	v_lshlrev_b32_e32 v6, 20, v6
	v_and_b32_e32 v20, 0x80000000, v20
	v_lshl_add_u32 v0, v0, 23, v27
	v_or3_b32 v20, v20, v0, v6
.LBB4_274:                              ;   in Loop: Header=BB4_108 Depth=3
	s_or_b64 exec, exec, s[74:75]
.LBB4_275:                              ;   in Loop: Header=BB4_108 Depth=3
	s_or_b64 exec, exec, s[72:73]
.LBB4_276:                              ;   in Loop: Header=BB4_108 Depth=3
	s_or_b64 exec, exec, s[18:19]
	v_mul_f32_e32 v20, v21, v20
	v_and_b32_e32 v28, 0x7f800000, v20
	v_mov_b32_e32 v29, v43
	v_cmp_ne_u64_e32 vcc, s[46:47], v[28:29]
                                        ; implicit-def: $vgpr35
	s_and_saveexec_b64 s[18:19], vcc
	s_xor_b64 s[72:73], exec, s[18:19]
	s_cbranch_execz .LBB4_290
; %bb.277:                              ;   in Loop: Header=BB4_108 Depth=3
	v_and_b32_e32 v28, 0x7fffffff, v20
	v_mov_b32_e32 v29, v43
	v_cmp_gt_u64_e32 vcc, s[56:57], v[28:29]
	v_and_b32_sdwa v0, v20, s36 dst_sel:DWORD dst_unused:UNUSED_PAD src0_sel:BYTE_3 src1_sel:DWORD
                                        ; implicit-def: $vgpr35
	s_and_saveexec_b64 s[18:19], vcc
	s_xor_b64 s[74:75], exec, s[18:19]
	s_cbranch_execz .LBB4_287
; %bb.278:                              ;   in Loop: Header=BB4_108 Depth=3
	v_mov_b32_e32 v35, 0
	v_cmp_ne_u32_e32 vcc, 0, v20
	s_and_saveexec_b64 s[76:77], vcc
	s_cbranch_execz .LBB4_286
; %bb.279:                              ;   in Loop: Header=BB4_108 Depth=3
	v_bfe_u32 v35, v20, 23, 8
	v_cmp_gt_u32_e64 s[18:19], s38, v35
	v_sub_u32_e32 v6, 0x79, v35
	v_cmp_eq_u32_e32 vcc, 0, v35
	v_cndmask_b32_e64 v6, 0, v6, s[18:19]
	v_cndmask_b32_e32 v6, v6, v5, vcc
	v_and_b32_e32 v21, 0x7fffff, v20
	v_add_u32_e32 v28, 20, v6
	v_or_b32_e32 v20, 0x800000, v21
	v_lshlrev_b64 v[28:29], v28, -1
	v_cndmask_b32_e32 v20, v20, v21, vcc
	v_mov_b32_e32 v21, v43
	v_add_u32_e32 v46, 19, v6
	v_bfi_b32 v28, v28, 0, v20
	v_lshlrev_b64 v[46:47], v46, 1
	v_lshrrev_b64 v[20:21], v6, v[20:21]
	v_bfi_b32 v29, v29, 0, 0
	v_cmp_eq_u64_e64 s[18:19], v[28:29], v[46:47]
	v_mov_b32_e32 v29, v21
	v_mov_b32_e32 v28, v20
	s_and_saveexec_b64 s[78:79], s[18:19]
; %bb.280:                              ;   in Loop: Header=BB4_108 Depth=3
	v_bfe_u32 v21, v20, 20, 1
	v_add_co_u32_e64 v21, s[18:19], v20, v21
	v_add_co_u32_e64 v28, s[18:19], -1, v21
; %bb.281:                              ;   in Loop: Header=BB4_108 Depth=3
	s_or_b64 exec, exec, s[78:79]
	v_add_u32_e32 v21, 0xffffff81, v35
	v_cndmask_b32_e32 v21, v21, v8, vcc
	v_lshrrev_b32_e32 v29, 23, v20
	v_add3_u32 v29, v6, v21, v29
	v_add_u32_e32 v6, 6, v29
	v_and_b32_e32 v21, 0xfffff, v28
	v_add_u32_e32 v20, v21, v20
	v_mov_b32_e32 v21, v43
	v_cmp_ne_u32_e32 vcc, 0, v6
                                        ; implicit-def: $vgpr28
	s_and_saveexec_b64 s[18:19], vcc
	s_xor_b64 s[18:19], exec, s[18:19]
; %bb.282:                              ;   in Loop: Header=BB4_108 Depth=3
	v_cmp_lt_u64_e32 vcc, s[58:59], v[20:21]
	v_add_u32_e32 v28, 7, v29
	v_cndmask_b32_e32 v28, v6, v28, vcc
	v_cndmask_b32_e64 v6, 0, 1, vcc
	v_lshrrev_b64 v[20:21], v6, v[20:21]
; %bb.283:                              ;   in Loop: Header=BB4_108 Depth=3
	s_andn2_saveexec_b64 s[18:19], s[18:19]
; %bb.284:                              ;   in Loop: Header=BB4_108 Depth=3
	v_bfe_u32 v28, v20, 23, 1
; %bb.285:                              ;   in Loop: Header=BB4_108 Depth=3
	s_or_b64 exec, exec, s[18:19]
	v_lshrrev_b64 v[20:21], 20, v[20:21]
	v_cmp_gt_i32_e32 vcc, 16, v28
	v_cndmask_b32_e32 v21, 0, v21, vcc
	v_cndmask_b32_e32 v20, 7, v20, vcc
	v_min_i32_e32 v6, 15, v28
	v_cmp_eq_u64_e64 s[18:19], 0, v[20:21]
	v_lshlrev_b32_e32 v6, 3, v6
	v_cmp_eq_u32_e32 vcc, 0, v28
	v_and_b32_e32 v6, 0xf8, v6
	v_and_or_b32 v6, v20, 7, v6
	s_and_b64 s[18:19], vcc, s[18:19]
	v_cndmask_b32_e64 v6, v6, 0, s[18:19]
	v_or_b32_e32 v35, v6, v0
.LBB4_286:                              ;   in Loop: Header=BB4_108 Depth=3
	s_or_b64 exec, exec, s[76:77]
                                        ; implicit-def: $vgpr0
.LBB4_287:                              ;   in Loop: Header=BB4_108 Depth=3
	s_andn2_saveexec_b64 s[18:19], s[74:75]
; %bb.288:                              ;   in Loop: Header=BB4_108 Depth=3
	v_or_b32_e32 v35, 0x7e, v0
; %bb.289:                              ;   in Loop: Header=BB4_108 Depth=3
	s_or_b64 exec, exec, s[18:19]
                                        ; implicit-def: $vgpr20
.LBB4_290:                              ;   in Loop: Header=BB4_108 Depth=3
	s_andn2_saveexec_b64 s[18:19], s[72:73]
; %bb.291:                              ;   in Loop: Header=BB4_108 Depth=3
	v_or_b32_sdwa v35, v20, s37 dst_sel:DWORD dst_unused:UNUSED_PAD src0_sel:BYTE_3 src1_sel:DWORD
; %bb.292:                              ;   in Loop: Header=BB4_108 Depth=3
	s_or_b64 exec, exec, s[18:19]
	v_lshrrev_b32_e32 v0, 16, v22
	v_cmp_ne_u16_sdwa s[72:73], v0, v43 src0_sel:BYTE_0 src1_sel:DWORD
	v_mov_b32_e32 v20, 0
	v_mov_b32_e32 v21, 0
	s_and_saveexec_b64 s[18:19], s[72:73]
	s_cbranch_execz .LBB4_298
; %bb.293:                              ;   in Loop: Header=BB4_108 Depth=3
	v_cmp_ne_u16_sdwa s[74:75], v0, s36 src0_sel:BYTE_0 src1_sel:DWORD
	v_bfrev_b32_e32 v21, 1
	s_and_saveexec_b64 s[72:73], s[74:75]
	s_cbranch_execz .LBB4_297
; %bb.294:                              ;   in Loop: Header=BB4_108 Depth=3
	v_bfe_u32 v6, v22, 16, 7
	v_cmp_ne_u32_e32 vcc, s37, v6
	v_mov_b32_e32 v21, 0x7f800001
	s_and_saveexec_b64 s[74:75], vcc
	s_cbranch_execz .LBB4_296
; %bb.295:                              ;   in Loop: Header=BB4_108 Depth=3
	v_and_b32_e32 v21, 7, v0
	v_lshrrev_b32_e32 v46, 3, v6
	v_cmp_gt_u32_e32 vcc, 8, v6
	v_ffbh_u32_e32 v6, v21
	v_min_u32_e32 v6, 32, v6
	v_subrev_u32_e32 v28, 28, v6
	v_lshlrev_b64 v[28:29], v28, v[0:1]
	v_sub_u32_e32 v6, 29, v6
	v_and_b32_e32 v28, 7, v28
	v_cndmask_b32_e32 v6, v46, v6, vcc
	v_cndmask_b32_e32 v21, v21, v28, vcc
	v_lshlrev_b32_e32 v0, 24, v0
	v_lshlrev_b32_e32 v21, 20, v21
	v_and_b32_e32 v0, 0x80000000, v0
	v_lshl_add_u32 v6, v6, 23, v27
	v_or3_b32 v21, v0, v6, v21
.LBB4_296:                              ;   in Loop: Header=BB4_108 Depth=3
	s_or_b64 exec, exec, s[74:75]
.LBB4_297:                              ;   in Loop: Header=BB4_108 Depth=3
	s_or_b64 exec, exec, s[72:73]
.LBB4_298:                              ;   in Loop: Header=BB4_108 Depth=3
	s_or_b64 exec, exec, s[18:19]
	v_and_b32_sdwa v6, v42, s35 dst_sel:DWORD dst_unused:UNUSED_PAD src0_sel:WORD_1 src1_sel:DWORD
	v_lshrrev_b32_e32 v0, 16, v42
	v_cmp_ne_u16_e32 vcc, 0, v6
	s_and_saveexec_b64 s[18:19], vcc
	s_cbranch_execz .LBB4_304
; %bb.299:                              ;   in Loop: Header=BB4_108 Depth=3
	v_cmp_ne_u16_e32 vcc, s36, v6
	v_bfrev_b32_e32 v20, 1
	s_and_saveexec_b64 s[72:73], vcc
	s_cbranch_execz .LBB4_303
; %bb.300:                              ;   in Loop: Header=BB4_108 Depth=3
	v_bfe_u32 v6, v42, 16, 7
	v_cmp_ne_u32_e32 vcc, s37, v6
	v_mov_b32_e32 v20, 0x7f800001
	s_and_saveexec_b64 s[74:75], vcc
	s_cbranch_execz .LBB4_302
; %bb.301:                              ;   in Loop: Header=BB4_108 Depth=3
	v_and_b32_e32 v20, 7, v0
	v_lshrrev_b32_e32 v46, 3, v6
	v_cmp_gt_u32_e32 vcc, 8, v6
	v_ffbh_u32_e32 v6, v20
	v_min_u32_e32 v6, 32, v6
	v_subrev_u32_e32 v28, 28, v6
	v_lshlrev_b64 v[28:29], v28, v[0:1]
	v_sub_u32_e32 v0, 29, v6
	v_and_b32_e32 v6, 7, v28
	v_cndmask_b32_e32 v0, v46, v0, vcc
	v_cndmask_b32_e32 v6, v20, v6, vcc
	v_lshlrev_b32_e32 v20, 8, v42
	v_lshlrev_b32_e32 v6, 20, v6
	v_and_b32_e32 v20, 0x80000000, v20
	v_lshl_add_u32 v0, v0, 23, v27
	v_or3_b32 v20, v20, v0, v6
.LBB4_302:                              ;   in Loop: Header=BB4_108 Depth=3
	s_or_b64 exec, exec, s[74:75]
.LBB4_303:                              ;   in Loop: Header=BB4_108 Depth=3
	s_or_b64 exec, exec, s[72:73]
.LBB4_304:                              ;   in Loop: Header=BB4_108 Depth=3
	s_or_b64 exec, exec, s[18:19]
	v_mul_f32_e32 v20, v21, v20
	v_and_b32_e32 v28, 0x7f800000, v20
	v_mov_b32_e32 v29, v43
	v_cmp_ne_u64_e32 vcc, s[46:47], v[28:29]
                                        ; implicit-def: $vgpr28
	s_and_saveexec_b64 s[18:19], vcc
	s_xor_b64 s[72:73], exec, s[18:19]
	s_cbranch_execz .LBB4_318
; %bb.305:                              ;   in Loop: Header=BB4_108 Depth=3
	v_and_b32_e32 v28, 0x7fffffff, v20
	v_mov_b32_e32 v29, v43
	v_cmp_gt_u64_e32 vcc, s[56:57], v[28:29]
	v_and_b32_sdwa v0, v20, s36 dst_sel:DWORD dst_unused:UNUSED_PAD src0_sel:BYTE_3 src1_sel:DWORD
                                        ; implicit-def: $vgpr28
	s_and_saveexec_b64 s[18:19], vcc
	s_xor_b64 s[74:75], exec, s[18:19]
	s_cbranch_execz .LBB4_315
; %bb.306:                              ;   in Loop: Header=BB4_108 Depth=3
	v_mov_b32_e32 v28, 0
	v_cmp_ne_u32_e32 vcc, 0, v20
	s_and_saveexec_b64 s[76:77], vcc
	s_cbranch_execz .LBB4_314
; %bb.307:                              ;   in Loop: Header=BB4_108 Depth=3
	v_bfe_u32 v46, v20, 23, 8
	v_cmp_gt_u32_e64 s[18:19], s38, v46
	v_sub_u32_e32 v6, 0x79, v46
	v_cmp_eq_u32_e32 vcc, 0, v46
	v_cndmask_b32_e64 v6, 0, v6, s[18:19]
	v_cndmask_b32_e32 v6, v6, v5, vcc
	v_and_b32_e32 v21, 0x7fffff, v20
	v_add_u32_e32 v28, 20, v6
	v_or_b32_e32 v20, 0x800000, v21
	v_lshlrev_b64 v[28:29], v28, -1
	v_cndmask_b32_e32 v20, v20, v21, vcc
	v_mov_b32_e32 v21, v43
	v_add_u32_e32 v47, 19, v6
	v_bfi_b32 v28, v28, 0, v20
	v_lshlrev_b64 v[58:59], v47, 1
	v_lshrrev_b64 v[20:21], v6, v[20:21]
	v_bfi_b32 v29, v29, 0, 0
	v_cmp_eq_u64_e64 s[18:19], v[28:29], v[58:59]
	v_mov_b32_e32 v29, v21
	v_mov_b32_e32 v28, v20
	s_and_saveexec_b64 s[78:79], s[18:19]
; %bb.308:                              ;   in Loop: Header=BB4_108 Depth=3
	v_bfe_u32 v21, v20, 20, 1
	v_add_co_u32_e64 v21, s[18:19], v20, v21
	v_add_co_u32_e64 v28, s[18:19], -1, v21
; %bb.309:                              ;   in Loop: Header=BB4_108 Depth=3
	s_or_b64 exec, exec, s[78:79]
	v_add_u32_e32 v21, 0xffffff81, v46
	v_cndmask_b32_e32 v21, v21, v8, vcc
	v_lshrrev_b32_e32 v29, 23, v20
	v_add3_u32 v29, v6, v21, v29
	v_add_u32_e32 v6, 6, v29
	v_and_b32_e32 v21, 0xfffff, v28
	v_add_u32_e32 v20, v21, v20
	v_mov_b32_e32 v21, v43
	v_cmp_ne_u32_e32 vcc, 0, v6
                                        ; implicit-def: $vgpr28
	s_and_saveexec_b64 s[18:19], vcc
	s_xor_b64 s[18:19], exec, s[18:19]
; %bb.310:                              ;   in Loop: Header=BB4_108 Depth=3
	v_cmp_lt_u64_e32 vcc, s[58:59], v[20:21]
	v_add_u32_e32 v28, 7, v29
	v_cndmask_b32_e32 v28, v6, v28, vcc
	v_cndmask_b32_e64 v6, 0, 1, vcc
	v_lshrrev_b64 v[20:21], v6, v[20:21]
; %bb.311:                              ;   in Loop: Header=BB4_108 Depth=3
	s_andn2_saveexec_b64 s[18:19], s[18:19]
; %bb.312:                              ;   in Loop: Header=BB4_108 Depth=3
	v_bfe_u32 v28, v20, 23, 1
; %bb.313:                              ;   in Loop: Header=BB4_108 Depth=3
	s_or_b64 exec, exec, s[18:19]
	v_lshrrev_b64 v[20:21], 20, v[20:21]
	v_cmp_gt_i32_e32 vcc, 16, v28
	v_cndmask_b32_e32 v21, 0, v21, vcc
	v_cndmask_b32_e32 v20, 7, v20, vcc
	v_min_i32_e32 v6, 15, v28
	v_cmp_eq_u64_e64 s[18:19], 0, v[20:21]
	v_lshlrev_b32_e32 v6, 3, v6
	v_cmp_eq_u32_e32 vcc, 0, v28
	v_and_b32_e32 v6, 0xf8, v6
	v_and_or_b32 v6, v20, 7, v6
	s_and_b64 s[18:19], vcc, s[18:19]
	v_cndmask_b32_e64 v6, v6, 0, s[18:19]
	v_or_b32_e32 v28, v6, v0
.LBB4_314:                              ;   in Loop: Header=BB4_108 Depth=3
	s_or_b64 exec, exec, s[76:77]
                                        ; implicit-def: $vgpr0
.LBB4_315:                              ;   in Loop: Header=BB4_108 Depth=3
	s_andn2_saveexec_b64 s[18:19], s[74:75]
; %bb.316:                              ;   in Loop: Header=BB4_108 Depth=3
	v_or_b32_e32 v28, 0x7e, v0
; %bb.317:                              ;   in Loop: Header=BB4_108 Depth=3
	s_or_b64 exec, exec, s[18:19]
                                        ; implicit-def: $vgpr20
.LBB4_318:                              ;   in Loop: Header=BB4_108 Depth=3
	s_andn2_saveexec_b64 s[18:19], s[72:73]
; %bb.319:                              ;   in Loop: Header=BB4_108 Depth=3
	v_or_b32_sdwa v28, v20, s37 dst_sel:DWORD dst_unused:UNUSED_PAD src0_sel:BYTE_3 src1_sel:DWORD
; %bb.320:                              ;   in Loop: Header=BB4_108 Depth=3
	s_or_b64 exec, exec, s[18:19]
	v_and_b32_e32 v20, 0xff000000, v22
	v_mov_b32_e32 v21, v43
	v_cmp_ne_u64_e32 vcc, 0, v[20:21]
	v_mov_b32_e32 v20, 0
	v_mov_b32_e32 v21, 0
	s_and_saveexec_b64 s[18:19], vcc
	s_cbranch_execz .LBB4_326
; %bb.321:                              ;   in Loop: Header=BB4_108 Depth=3
	v_lshrrev_b32_e32 v0, 24, v22
	v_cmp_ne_u32_e32 vcc, s36, v0
	v_bfrev_b32_e32 v21, 1
	s_and_saveexec_b64 s[72:73], vcc
	s_cbranch_execz .LBB4_325
; %bb.322:                              ;   in Loop: Header=BB4_108 Depth=3
	v_bfe_u32 v6, v22, 24, 7
	v_cmp_ne_u32_e32 vcc, s37, v6
	v_mov_b32_e32 v21, 0x7f800001
	s_and_saveexec_b64 s[74:75], vcc
	s_cbranch_execz .LBB4_324
; %bb.323:                              ;   in Loop: Header=BB4_108 Depth=3
	v_and_b32_e32 v29, 7, v0
	v_lshrrev_b32_e32 v46, 3, v6
	v_cmp_gt_u32_e32 vcc, 8, v6
	v_ffbh_u32_e32 v6, v29
	v_min_u32_e32 v6, 32, v6
	v_subrev_u32_e32 v21, 28, v6
	v_lshlrev_b64 v[21:22], v21, v[0:1]
	v_sub_u32_e32 v6, 29, v6
	v_and_b32_e32 v21, 7, v21
	v_cndmask_b32_e32 v6, v46, v6, vcc
	v_cndmask_b32_e32 v21, v29, v21, vcc
	v_lshlrev_b32_e32 v0, 24, v0
	v_lshlrev_b32_e32 v21, 20, v21
	v_and_b32_e32 v0, 0x80000000, v0
	v_lshl_add_u32 v6, v6, 23, v27
	v_or3_b32 v21, v0, v6, v21
.LBB4_324:                              ;   in Loop: Header=BB4_108 Depth=3
	s_or_b64 exec, exec, s[74:75]
.LBB4_325:                              ;   in Loop: Header=BB4_108 Depth=3
	s_or_b64 exec, exec, s[72:73]
.LBB4_326:                              ;   in Loop: Header=BB4_108 Depth=3
	s_or_b64 exec, exec, s[18:19]
	v_cmp_lt_u32_e32 vcc, s39, v42
	s_and_saveexec_b64 s[18:19], vcc
	s_cbranch_execz .LBB4_332
; %bb.327:                              ;   in Loop: Header=BB4_108 Depth=3
	v_lshrrev_b32_e32 v0, 24, v42
	v_cmp_ne_u32_sdwa s[74:75], v42, s36 src0_sel:BYTE_3 src1_sel:DWORD
	v_bfrev_b32_e32 v20, 1
	s_and_saveexec_b64 s[72:73], s[74:75]
	s_cbranch_execz .LBB4_331
; %bb.328:                              ;   in Loop: Header=BB4_108 Depth=3
	v_bfe_u32 v6, v42, 24, 7
	v_cmp_ne_u32_e32 vcc, s37, v6
	v_mov_b32_e32 v20, 0x7f800001
	s_and_saveexec_b64 s[74:75], vcc
	s_cbranch_execz .LBB4_330
; %bb.329:                              ;   in Loop: Header=BB4_108 Depth=3
	v_and_b32_e32 v20, 7, v0
	v_lshrrev_b32_e32 v22, 3, v6
	v_cmp_gt_u32_e32 vcc, 8, v6
	v_ffbh_u32_e32 v6, v20
	v_min_u32_e32 v6, 32, v6
	v_subrev_u32_e32 v29, 28, v6
	v_lshlrev_b64 v[46:47], v29, v[0:1]
	v_sub_u32_e32 v0, 29, v6
	v_and_b32_e32 v6, 7, v46
	v_cndmask_b32_e32 v0, v22, v0, vcc
	v_cndmask_b32_e32 v6, v20, v6, vcc
	v_lshlrev_b32_sdwa v20, v9, v42 dst_sel:DWORD dst_unused:UNUSED_PAD src0_sel:DWORD src1_sel:BYTE_3
	v_lshlrev_b32_e32 v6, 20, v6
	v_and_b32_e32 v20, 0x80000000, v20
	v_lshl_add_u32 v0, v0, 23, v27
	v_or3_b32 v20, v20, v0, v6
.LBB4_330:                              ;   in Loop: Header=BB4_108 Depth=3
	s_or_b64 exec, exec, s[74:75]
.LBB4_331:                              ;   in Loop: Header=BB4_108 Depth=3
	s_or_b64 exec, exec, s[72:73]
.LBB4_332:                              ;   in Loop: Header=BB4_108 Depth=3
	s_or_b64 exec, exec, s[18:19]
	v_mul_f32_e32 v21, v21, v20
	v_and_b32_e32 v42, 0x7f800000, v21
	v_cmp_ne_u64_e32 vcc, s[46:47], v[42:43]
                                        ; implicit-def: $vgpr20
	s_and_saveexec_b64 s[18:19], vcc
	s_xor_b64 s[72:73], exec, s[18:19]
	s_cbranch_execz .LBB4_346
; %bb.333:                              ;   in Loop: Header=BB4_108 Depth=3
	v_and_b32_e32 v42, 0x7fffffff, v21
	v_cmp_gt_u64_e32 vcc, s[56:57], v[42:43]
	v_and_b32_sdwa v0, v21, s36 dst_sel:DWORD dst_unused:UNUSED_PAD src0_sel:BYTE_3 src1_sel:DWORD
                                        ; implicit-def: $vgpr20
	s_and_saveexec_b64 s[18:19], vcc
	s_xor_b64 s[74:75], exec, s[18:19]
	s_cbranch_execz .LBB4_343
; %bb.334:                              ;   in Loop: Header=BB4_108 Depth=3
	v_mov_b32_e32 v20, 0
	v_cmp_ne_u32_e32 vcc, 0, v21
	s_and_saveexec_b64 s[76:77], vcc
	s_cbranch_execz .LBB4_342
; %bb.335:                              ;   in Loop: Header=BB4_108 Depth=3
	v_bfe_u32 v29, v21, 23, 8
	v_cmp_gt_u32_e64 s[18:19], s38, v29
	v_sub_u32_e32 v6, 0x79, v29
	v_and_b32_e32 v20, 0x7fffff, v21
	v_cmp_eq_u32_e32 vcc, 0, v29
	v_cndmask_b32_e64 v6, 0, v6, s[18:19]
	v_or_b32_e32 v21, 0x800000, v20
	v_cndmask_b32_e32 v6, v6, v5, vcc
	v_cndmask_b32_e32 v42, v21, v20, vcc
	v_add_u32_e32 v20, 20, v6
	v_lshlrev_b64 v[20:21], v20, -1
	v_add_u32_e32 v22, 19, v6
	v_lshlrev_b64 v[46:47], v22, 1
	v_bfi_b32 v21, v21, 0, 0
	v_bfi_b32 v20, v20, 0, v42
	v_cmp_eq_u64_e64 s[18:19], v[20:21], v[46:47]
	v_lshrrev_b64 v[20:21], v6, v[42:43]
	v_mov_b32_e32 v22, v21
	v_mov_b32_e32 v21, v20
	s_and_saveexec_b64 s[78:79], s[18:19]
; %bb.336:                              ;   in Loop: Header=BB4_108 Depth=3
	v_bfe_u32 v21, v20, 20, 1
	v_add_co_u32_e64 v21, s[18:19], v20, v21
	v_add_co_u32_e64 v21, s[18:19], -1, v21
; %bb.337:                              ;   in Loop: Header=BB4_108 Depth=3
	s_or_b64 exec, exec, s[78:79]
	v_add_u32_e32 v22, 0xffffff81, v29
	v_cndmask_b32_e32 v22, v22, v8, vcc
	v_lshrrev_b32_e32 v29, 23, v20
	v_add3_u32 v29, v6, v22, v29
	v_add_u32_e32 v6, 6, v29
	v_and_b32_e32 v21, 0xfffff, v21
	v_add_u32_e32 v42, v21, v20
	v_cmp_ne_u32_e32 vcc, 0, v6
                                        ; implicit-def: $vgpr20_vgpr21
                                        ; implicit-def: $vgpr22
	s_and_saveexec_b64 s[18:19], vcc
	s_xor_b64 s[18:19], exec, s[18:19]
; %bb.338:                              ;   in Loop: Header=BB4_108 Depth=3
	v_cmp_lt_u64_e32 vcc, s[58:59], v[42:43]
	v_add_u32_e32 v20, 7, v29
	v_cndmask_b32_e32 v22, v6, v20, vcc
	v_cndmask_b32_e64 v6, 0, 1, vcc
	v_lshrrev_b64 v[20:21], v6, v[42:43]
; %bb.339:                              ;   in Loop: Header=BB4_108 Depth=3
	s_andn2_saveexec_b64 s[18:19], s[18:19]
; %bb.340:                              ;   in Loop: Header=BB4_108 Depth=3
	v_mov_b32_e32 v20, v42
	v_bfe_u32 v22, v42, 23, 1
	v_mov_b32_e32 v21, v43
; %bb.341:                              ;   in Loop: Header=BB4_108 Depth=3
	s_or_b64 exec, exec, s[18:19]
	v_lshrrev_b64 v[20:21], 20, v[20:21]
	v_cmp_gt_i32_e32 vcc, 16, v22
	v_cndmask_b32_e32 v21, 0, v21, vcc
	v_cndmask_b32_e32 v20, 7, v20, vcc
	v_min_i32_e32 v6, 15, v22
	v_cmp_eq_u64_e64 s[18:19], 0, v[20:21]
	v_lshlrev_b32_e32 v6, 3, v6
	v_cmp_eq_u32_e32 vcc, 0, v22
	v_and_b32_e32 v6, 0xf8, v6
	v_and_or_b32 v6, v20, 7, v6
	s_and_b64 s[18:19], vcc, s[18:19]
	v_cndmask_b32_e64 v6, v6, 0, s[18:19]
	v_or_b32_e32 v20, v6, v0
.LBB4_342:                              ;   in Loop: Header=BB4_108 Depth=3
	s_or_b64 exec, exec, s[76:77]
                                        ; implicit-def: $vgpr0
.LBB4_343:                              ;   in Loop: Header=BB4_108 Depth=3
	s_andn2_saveexec_b64 s[18:19], s[74:75]
; %bb.344:                              ;   in Loop: Header=BB4_108 Depth=3
	v_or_b32_e32 v20, 0x7e, v0
; %bb.345:                              ;   in Loop: Header=BB4_108 Depth=3
	s_or_b64 exec, exec, s[18:19]
                                        ; implicit-def: $vgpr21
.LBB4_346:                              ;   in Loop: Header=BB4_108 Depth=3
	s_andn2_saveexec_b64 s[18:19], s[72:73]
	s_cbranch_execz .LBB4_107
; %bb.347:                              ;   in Loop: Header=BB4_108 Depth=3
	v_or_b32_sdwa v20, v21, s37 dst_sel:DWORD dst_unused:UNUSED_PAD src0_sel:BYTE_3 src1_sel:DWORD
	s_branch .LBB4_107
.LBB4_348:                              ;   in Loop: Header=BB4_70 Depth=2
	s_or_b64 exec, exec, s[60:61]
	s_and_saveexec_b64 s[18:19], s[10:11]
	s_cbranch_execz .LBB4_361
.LBB4_349:                              ;   in Loop: Header=BB4_70 Depth=2
	s_and_saveexec_b64 s[60:61], s[40:41]
	s_xor_b64 s[60:61], exec, s[60:61]
	s_cbranch_execz .LBB4_370
; %bb.350:                              ;   in Loop: Header=BB4_70 Depth=2
	s_and_saveexec_b64 s[62:63], s[12:13]
	s_cbranch_execz .LBB4_369
; %bb.351:                              ;   in Loop: Header=BB4_70 Depth=2
	s_mov_b64 s[74:75], exec
	s_waitcnt vmcnt(0) lgkmcnt(0)
	v_mbcnt_lo_u32_b32 v0, s74, 0
	v_mbcnt_hi_u32_b32 v0, s75, v0
	v_cmp_eq_u32_e32 vcc, 0, v0
	buffer_wbinvl1_vol
	s_and_saveexec_b64 s[72:73], vcc
	s_cbranch_execz .LBB4_353
; %bb.352:                              ;   in Loop: Header=BB4_70 Depth=2
	s_bcnt1_i32_b64 s26, s[74:75]
	v_mov_b32_e32 v42, s26
	ds_add_u64 v0, v[42:43]
	s_trap 2
.LBB4_353:                              ;   in Loop: Header=BB4_70 Depth=2
	s_or_b64 exec, exec, s[72:73]
	s_trap 2
	ds_read_b64 v[6:7], v0
	s_waitcnt lgkmcnt(0)
	buffer_load_dword v0, off, s[0:3], s32 offset:96 ; 4-byte Folded Reload
	s_waitcnt vmcnt(0)
	v_add_co_u32_e32 v2, vcc, v2, v0
	v_addc_co_u32_e32 v3, vcc, 0, v3, vcc
	v_cmp_lt_u64_e32 vcc, v[6:7], v[2:3]
	s_and_saveexec_b64 s[72:73], vcc
	s_cbranch_execz .LBB4_368
; %bb.354:                              ;   in Loop: Header=BB4_70 Depth=2
	s_mov_b32 s26, 0
	s_mov_b64 s[74:75], 0
                                        ; implicit-def: $sgpr76_sgpr77
                                        ; implicit-def: $sgpr78_sgpr79
	s_branch .LBB4_356
.LBB4_355:                              ;   in Loop: Header=BB4_356 Depth=3
	s_or_b64 exec, exec, s[90:91]
	s_and_b64 s[88:89], exec, s[92:93]
	s_or_b64 s[74:75], s[88:89], s[74:75]
	s_andn2_b64 s[76:77], s[76:77], exec
	s_and_b64 s[88:89], s[78:79], exec
	s_or_b64 s[76:77], s[76:77], s[88:89]
	s_andn2_b64 exec, exec, s[74:75]
	s_cbranch_execz .LBB4_366
.LBB4_356:                              ;   Parent Loop BB4_21 Depth=1
                                        ;     Parent Loop BB4_70 Depth=2
                                        ; =>    This Inner Loop Header: Depth=3
	s_add_i32 s26, s26, 1
	s_cmpk_lg_i32 s26, 0x2710
	s_cselect_b64 s[88:89], -1, 0
	s_and_b64 vcc, exec, s[88:89]
	s_cbranch_vccz .LBB4_358
; %bb.357:                              ;   in Loop: Header=BB4_356 Depth=3
	s_mov_b64 s[92:93], -1
	s_or_b64 s[78:79], s[78:79], exec
	s_and_saveexec_b64 s[90:91], s[88:89]
	s_cbranch_execz .LBB4_355
	s_branch .LBB4_359
.LBB4_358:                              ;   in Loop: Header=BB4_356 Depth=3
	s_trap 2
	ds_read_b64 v[6:7], v0
	s_andn2_b64 s[88:89], s[88:89], exec
	s_mov_b32 s26, 0
	s_waitcnt lgkmcnt(0)
	flat_load_dword v0, v[6:7] glc
	s_waitcnt vmcnt(0) lgkmcnt(0)
	buffer_wbinvl1_vol
	v_cmp_eq_u32_e32 vcc, 0, v0
	s_and_b64 s[90:91], vcc, exec
	s_or_b64 s[88:89], s[88:89], s[90:91]
	s_mov_b64 s[92:93], -1
	s_or_b64 s[78:79], s[78:79], exec
	s_and_saveexec_b64 s[90:91], s[88:89]
	s_cbranch_execz .LBB4_355
.LBB4_359:                              ;   in Loop: Header=BB4_356 Depth=3
	s_sleep 1
	s_trap 2
	ds_read_b64 v[6:7], v0
	s_waitcnt lgkmcnt(0)
	s_andn2_b64 s[78:79], s[78:79], exec
	v_cmp_ge_u64_e32 vcc, v[6:7], v[2:3]
	s_orn2_b64 s[92:93], vcc, exec
	s_branch .LBB4_355
.LBB4_360:                              ;   in Loop: Header=BB4_70 Depth=2
	s_or_b64 exec, exec, s[62:63]
	s_or_b64 exec, exec, s[60:61]
	s_and_saveexec_b64 s[18:19], s[10:11]
	s_cbranch_execnz .LBB4_349
.LBB4_361:                              ;   in Loop: Header=BB4_70 Depth=2
	s_or_b64 exec, exec, s[18:19]
	s_and_saveexec_b64 s[18:19], s[14:15]
	s_cbranch_execz .LBB4_363
.LBB4_362:                              ;   in Loop: Header=BB4_70 Depth=2
	buffer_load_dword v6, off, s[0:3], s32 offset:68 ; 4-byte Folded Reload
	buffer_load_dword v7, off, s[0:3], s32 offset:72 ; 4-byte Folded Reload
	v_add_co_u32_e32 v48, vcc, 1, v48
	v_addc_co_u32_e32 v49, vcc, 0, v49, vcc
	s_waitcnt vmcnt(0)
	flat_store_dwordx2 v[6:7], v[48:49]
.LBB4_363:                              ;   in Loop: Header=BB4_70 Depth=2
	s_or_b64 exec, exec, s[18:19]
	v_and_b32_e32 v42, 0x7ffffff8, v56
	v_cmp_eq_u64_e32 vcc, s[44:45], v[42:43]
	v_cmp_gt_i32_e64 s[18:19], s34, v60
	s_and_b64 s[18:19], vcc, s[18:19]
	s_and_saveexec_b64 s[60:61], s[18:19]
	s_cbranch_execz .LBB4_69
; %bb.364:                              ;   in Loop: Header=BB4_70 Depth=2
	s_waitcnt vmcnt(0) lgkmcnt(0)
	v_and_b32_e32 v0, 7, v50
	v_mul_lo_u32 v6, s34, v0
	v_ashrrev_i32_e32 v61, 31, v60
	v_lshlrev_b64 v[10:11], 4, v[60:61]
	v_mov_b32_e32 v18, v43
	v_ashrrev_i32_e32 v7, 31, v6
	v_lshlrev_b64 v[6:7], 4, v[6:7]
	s_mov_b64 s[62:63], 0
	v_add_co_u32_e32 v0, vcc, v10, v6
	v_addc_co_u32_e32 v6, vcc, v11, v7, vcc
	v_add_co_u32_e32 v22, vcc, v38, v0
	v_addc_co_u32_e32 v23, vcc, v39, v6, vcc
.LBB4_365:                              ;   Parent Loop BB4_21 Depth=1
                                        ;     Parent Loop BB4_70 Depth=2
                                        ; =>    This Inner Loop Header: Depth=3
	v_mov_b32_e32 v20, v18
	v_mov_b32_e32 v21, v19
	v_add_u32_e32 v60, v60, v1
	global_store_dwordx4 v[22:23], v[18:21], off
	v_add_co_u32_e32 v22, vcc, v22, v44
	v_cmp_le_i32_e64 s[18:19], s34, v60
	s_or_b64 s[62:63], s[18:19], s[62:63]
	v_addc_co_u32_e32 v23, vcc, v23, v45, vcc
	s_andn2_b64 exec, exec, s[62:63]
	s_cbranch_execnz .LBB4_365
	s_branch .LBB4_69
.LBB4_366:                              ;   in Loop: Header=BB4_70 Depth=2
	s_or_b64 exec, exec, s[74:75]
	s_and_saveexec_b64 s[74:75], s[76:77]
	s_xor_b64 s[74:75], exec, s[74:75]
	s_cbranch_execz .LBB4_368
; %bb.367:                              ;   in Loop: Header=BB4_70 Depth=2
	v_mov_b32_e32 v0, 1
	ds_write_b32 v0, v0
	s_trap 2
.LBB4_368:                              ;   in Loop: Header=BB4_70 Depth=2
	s_or_b64 exec, exec, s[72:73]
	;;#ASMSTART
	s_wakeup
	;;#ASMEND
.LBB4_369:                              ;   in Loop: Header=BB4_70 Depth=2
	s_or_b64 exec, exec, s[62:63]
.LBB4_370:                              ;   in Loop: Header=BB4_70 Depth=2
	s_andn2_saveexec_b64 s[60:61], s[60:61]
	s_cbranch_execz .LBB4_372
; %bb.371:                              ;   in Loop: Header=BB4_70 Depth=2
	s_waitcnt vmcnt(0) lgkmcnt(0)
	buffer_wbinvl1_vol
	s_barrier
.LBB4_372:                              ;   in Loop: Header=BB4_70 Depth=2
	s_or_b64 exec, exec, s[60:61]
	s_or_b64 exec, exec, s[18:19]
	s_and_saveexec_b64 s[18:19], s[14:15]
	s_cbranch_execnz .LBB4_362
	s_branch .LBB4_363
.LBB4_373:                              ;   in Loop: Header=BB4_21 Depth=1
	buffer_load_dword v61, off, s[0:3], s32 offset:160 ; 4-byte Folded Reload
	buffer_load_dword v62, off, s[0:3], s32 offset:164 ; 4-byte Folded Reload
	;; [unrolled: 1-line block ×5, first 2 shown]
.LBB4_374:                              ;   in Loop: Header=BB4_21 Depth=1
	v_mov_b32_e32 v22, v56
	v_mov_b32_e32 v23, v57
	buffer_load_dword v29, off, s[0:3], s32 offset:108 ; 4-byte Folded Reload
	buffer_load_dword v30, off, s[0:3], s32 offset:112 ; 4-byte Folded Reload
	s_and_saveexec_b64 s[18:19], s[16:17]
	s_cbranch_execz .LBB4_636
; %bb.375:                              ;   in Loop: Header=BB4_21 Depth=1
	s_waitcnt vmcnt(0) lgkmcnt(0)
	flat_load_dword v0, v[24:25]
	buffer_load_dword v18, off, s[0:3], s32 offset:168 ; 4-byte Folded Reload
	buffer_load_dword v19, off, s[0:3], s32 offset:172 ; 4-byte Folded Reload
	;; [unrolled: 1-line block ×6, first 2 shown]
	v_add_u32_e32 v51, 1, v36
	s_mov_b64 s[60:61], 0
	v_mov_b32_e32 v58, v4
	s_waitcnt vmcnt(0) lgkmcnt(0)
	v_ashrrev_i32_e32 v10, 31, v0
	v_mov_b32_e32 v6, v20
	v_mov_b32_e32 v7, v21
	v_add_co_u32_e32 v6, vcc, v6, v29
	v_addc_co_u32_e32 v7, vcc, v7, v30, vcc
	v_mul_lo_u32 v11, v11, v0
	v_mul_lo_u32 v10, v12, v10
	v_mad_u64_u32 v[6:7], s[16:17], v12, v0, v[6:7]
	v_add3_u32 v0, v11, v7, v10
	v_lshlrev_b32_e32 v7, 3, v4
	v_add_co_u32_e32 v12, vcc, v6, v7
	buffer_load_dword v6, off, s[0:3], s32 offset:184 ; 4-byte Folded Reload
	s_waitcnt vmcnt(0)
	v_addc_co_u32_e32 v28, vcc, v0, v6, vcc
	buffer_load_dword v0, off, s[0:3], s32 offset:196 ; 4-byte Folded Reload
	s_waitcnt vmcnt(0)
	v_add_co_u32_e32 v56, vcc, v0, v29
	buffer_load_dword v0, off, s[0:3], s32 offset:200 ; 4-byte Folded Reload
	buffer_load_dword v10, off, s[0:3], s32 offset:76 ; 4-byte Folded Reload
	buffer_load_dword v11, off, s[0:3], s32 offset:80 ; 4-byte Folded Reload
	s_waitcnt vmcnt(2)
	v_addc_co_u32_e32 v57, vcc, v0, v30, vcc
	v_and_b32_e32 v0, 7, v36
	v_mul_lo_u32 v6, v0, s34
	v_ashrrev_i32_e32 v7, 31, v6
	v_lshlrev_b64 v[6:7], 4, v[6:7]
	s_waitcnt vmcnt(1)
	v_add_co_u32_e32 v29, vcc, v10, v6
	s_waitcnt vmcnt(0)
	v_addc_co_u32_e32 v50, vcc, v11, v7, vcc
	s_branch .LBB4_377
.LBB4_376:                              ;   in Loop: Header=BB4_377 Depth=2
	v_add_co_u32_e32 v12, vcc, v12, v13
	v_addc_co_u32_e32 v28, vcc, 0, v28, vcc
	v_add_co_u32_e32 v56, vcc, v56, v13
	v_addc_co_u32_e32 v57, vcc, 0, v57, vcc
	v_sub_u32_e32 v26, v26, v13
	v_cmp_gt_i32_e32 vcc, 1, v26
	s_or_b64 s[60:61], vcc, s[60:61]
	v_add_u32_e32 v58, v58, v1
	s_andn2_b64 exec, exec, s[60:61]
	s_cbranch_execz .LBB4_635
.LBB4_377:                              ;   Parent Loop BB4_21 Depth=1
                                        ; =>  This Loop Header: Depth=2
                                        ;       Child Loop BB4_385 Depth 3
	v_and_b32_e32 v18, -4, v12
	v_mov_b32_e32 v19, v28
	global_load_dword v0, v[18:19], off glc slc
	v_min_u32_e32 v6, 8, v26
	v_and_b32_e32 v7, 3, v12
	v_add_u32_e32 v42, v7, v6
	v_cmp_lt_u32_e32 vcc, 4, v42
	v_mov_b32_e32 v34, 0
	v_mov_b32_e32 v35, 0
	s_and_saveexec_b64 s[16:17], vcc
	s_cbranch_execz .LBB4_379
; %bb.378:                              ;   in Loop: Header=BB4_377 Depth=2
	global_load_dword v35, v[18:19], off offset:4 glc slc
.LBB4_379:                              ;   in Loop: Header=BB4_377 Depth=2
	s_or_b64 exec, exec, s[16:17]
	v_cmp_lt_u64_e32 vcc, 8, v[42:43]
	s_and_saveexec_b64 s[16:17], vcc
	s_cbranch_execz .LBB4_381
; %bb.380:                              ;   in Loop: Header=BB4_377 Depth=2
	global_load_dword v34, v[18:19], off offset:8 glc slc
.LBB4_381:                              ;   in Loop: Header=BB4_377 Depth=2
	s_or_b64 exec, exec, s[16:17]
	v_ashrrev_i32_e32 v59, 31, v58
	v_lshlrev_b64 v[6:7], 4, v[58:59]
	v_add_co_u32_e32 v32, vcc, v29, v6
	v_addc_co_u32_e32 v33, vcc, v50, v7, vcc
	global_load_dwordx4 v[18:21], v[32:33], off glc slc
	v_cmp_eq_u32_e32 vcc, 0, v40
	s_and_saveexec_b64 s[62:63], vcc
	s_cbranch_execz .LBB4_393
; %bb.382:                              ;   in Loop: Header=BB4_377 Depth=2
	s_waitcnt vmcnt(0)
	v_cmp_ne_u32_e32 vcc, v51, v19
	v_cmp_ne_u32_e64 s[16:17], v51, v21
	s_or_b64 s[16:17], vcc, s[16:17]
	v_mov_b32_e32 v40, 0
	s_and_saveexec_b64 s[72:73], s[16:17]
	s_cbranch_execz .LBB4_392
; %bb.383:                              ;   in Loop: Header=BB4_377 Depth=2
	s_mov_b32 s26, 1
	s_mov_b64 s[76:77], 0
                                        ; implicit-def: $sgpr74_sgpr75
                                        ; implicit-def: $sgpr78_sgpr79
	s_branch .LBB4_385
.LBB4_384:                              ;   in Loop: Header=BB4_385 Depth=3
	s_or_b64 exec, exec, s[90:91]
	s_and_b64 s[16:17], exec, s[16:17]
	s_or_b64 s[76:77], s[16:17], s[76:77]
	s_andn2_b64 s[16:17], s[74:75], exec
	s_and_b64 s[74:75], s[78:79], exec
	s_or_b64 s[74:75], s[16:17], s[74:75]
	s_andn2_b64 exec, exec, s[76:77]
	s_cbranch_execz .LBB4_389
.LBB4_385:                              ;   Parent Loop BB4_21 Depth=1
                                        ;     Parent Loop BB4_377 Depth=2
                                        ; =>    This Inner Loop Header: Depth=3
	global_load_dwordx4 v[18:21], v[32:33], off glc slc
	s_add_i32 s26, s26, 1
	s_mov_b64 s[16:17], -1
	s_cmpk_lg_i32 s26, 0x2710
	s_mov_b64 s[88:89], -1
                                        ; implicit-def: $vgpr7
	s_cbranch_scc0 .LBB4_387
; %bb.386:                              ;   in Loop: Header=BB4_385 Depth=3
	s_or_b64 s[78:79], s[78:79], exec
	s_and_saveexec_b64 s[90:91], s[88:89]
	s_cbranch_execz .LBB4_384
	s_branch .LBB4_388
.LBB4_387:                              ;   in Loop: Header=BB4_385 Depth=3
	s_trap 2
	ds_read_b64 v[6:7], v0
	s_mov_b32 s26, 0
	s_waitcnt vmcnt(0) lgkmcnt(0)
	flat_load_dword v7, v[6:7] glc
	s_waitcnt vmcnt(0) lgkmcnt(0)
	buffer_wbinvl1_vol
	v_cmp_eq_u32_e32 vcc, 0, v7
	s_orn2_b64 s[88:89], vcc, exec
	s_or_b64 s[78:79], s[78:79], exec
	s_and_saveexec_b64 s[90:91], s[88:89]
	s_cbranch_execz .LBB4_384
.LBB4_388:                              ;   in Loop: Header=BB4_385 Depth=3
	s_waitcnt vmcnt(0)
	v_cmp_eq_u32_e32 vcc, v51, v19
	v_cmp_eq_u32_e64 s[16:17], v51, v21
	s_and_b64 s[16:17], vcc, s[16:17]
	s_andn2_b64 s[78:79], s[78:79], exec
	s_orn2_b64 s[16:17], s[16:17], exec
	s_branch .LBB4_384
.LBB4_389:                              ;   in Loop: Header=BB4_377 Depth=2
	s_or_b64 exec, exec, s[76:77]
	v_mov_b32_e32 v40, 0
	s_and_saveexec_b64 s[16:17], s[74:75]
	s_xor_b64 s[16:17], exec, s[16:17]
	s_cbranch_execz .LBB4_391
; %bb.390:                              ;   in Loop: Header=BB4_377 Depth=2
	v_mov_b32_e32 v40, 1
	ds_write_b32 v0, v7
	s_trap 2
.LBB4_391:                              ;   in Loop: Header=BB4_377 Depth=2
	s_or_b64 exec, exec, s[16:17]
.LBB4_392:                              ;   in Loop: Header=BB4_377 Depth=2
	s_or_b64 exec, exec, s[72:73]
.LBB4_393:                              ;   in Loop: Header=BB4_377 Depth=2
	s_or_b64 exec, exec, s[62:63]
	s_waitcnt vmcnt(0)
	v_cmp_ne_u16_sdwa s[62:63], v18, v43 src0_sel:BYTE_0 src1_sel:DWORD
	v_mov_b32_e32 v7, 0
	v_mov_b32_e32 v10, 0
	s_and_saveexec_b64 s[16:17], s[62:63]
	s_cbranch_execz .LBB4_399
; %bb.394:                              ;   in Loop: Header=BB4_377 Depth=2
	v_cmp_ne_u16_sdwa s[72:73], v18, s36 src0_sel:BYTE_0 src1_sel:DWORD
	v_bfrev_b32_e32 v10, 1
	s_and_saveexec_b64 s[62:63], s[72:73]
	s_cbranch_execz .LBB4_398
; %bb.395:                              ;   in Loop: Header=BB4_377 Depth=2
	v_and_b32_e32 v6, 0x7f, v18
	v_cmp_ne_u32_e32 vcc, s37, v6
	v_mov_b32_e32 v10, 0x7f800001
	s_and_saveexec_b64 s[72:73], vcc
	s_cbranch_execz .LBB4_397
; %bb.396:                              ;   in Loop: Header=BB4_377 Depth=2
	v_and_b32_e32 v10, 7, v18
	v_lshrrev_b32_e32 v11, 3, v6
	v_cmp_gt_u32_e32 vcc, 8, v6
	v_ffbh_u32_e32 v6, v10
	v_min_u32_e32 v6, 32, v6
	v_subrev_u32_e32 v10, 28, v6
	v_sub_u32_e32 v6, 29, v6
	v_cndmask_b32_e32 v10, 0, v10, vcc
	v_cndmask_b32_e32 v6, v11, v6, vcc
	v_lshlrev_b64 v[10:11], v10, v[18:19]
	v_lshlrev_b32_e32 v11, 24, v18
	v_lshlrev_b32_e32 v10, 20, v10
	v_and_b32_e32 v10, 0x700000, v10
	v_and_b32_e32 v11, 0x80000000, v11
	v_lshl_add_u32 v6, v6, 23, v27
	v_or3_b32 v10, v11, v6, v10
.LBB4_397:                              ;   in Loop: Header=BB4_377 Depth=2
	s_or_b64 exec, exec, s[72:73]
.LBB4_398:                              ;   in Loop: Header=BB4_377 Depth=2
	s_or_b64 exec, exec, s[62:63]
.LBB4_399:                              ;   in Loop: Header=BB4_377 Depth=2
	s_or_b64 exec, exec, s[16:17]
	v_lshlrev_b32_e32 v33, 3, v12
	v_alignbit_b32 v42, v35, v0, v33
	v_cmp_ne_u16_sdwa s[62:63], v42, v43 src0_sel:BYTE_0 src1_sel:DWORD
	s_and_saveexec_b64 s[16:17], s[62:63]
	s_cbranch_execz .LBB4_405
; %bb.400:                              ;   in Loop: Header=BB4_377 Depth=2
	v_cmp_ne_u16_sdwa s[72:73], v42, s36 src0_sel:BYTE_0 src1_sel:DWORD
	v_bfrev_b32_e32 v7, 1
	s_and_saveexec_b64 s[62:63], s[72:73]
	s_cbranch_execz .LBB4_404
; %bb.401:                              ;   in Loop: Header=BB4_377 Depth=2
	v_and_b32_e32 v0, 0x7f, v42
	v_cmp_ne_u32_e32 vcc, s37, v0
	v_mov_b32_e32 v7, 0x7f800001
	s_and_saveexec_b64 s[72:73], vcc
	s_cbranch_execz .LBB4_403
; %bb.402:                              ;   in Loop: Header=BB4_377 Depth=2
	v_and_b32_e32 v6, 7, v42
	v_lshrrev_b32_e32 v7, 3, v0
	v_cmp_gt_u32_e32 vcc, 8, v0
	v_ffbh_u32_e32 v0, v6
	v_min_u32_e32 v0, 32, v0
	v_subrev_u32_e32 v6, 28, v0
	v_sub_u32_e32 v0, 29, v0
	v_cndmask_b32_e32 v6, 0, v6, vcc
	v_cndmask_b32_e32 v0, v7, v0, vcc
	v_lshlrev_b64 v[6:7], v6, v[42:43]
	v_lshlrev_b32_e32 v7, 24, v42
	v_lshlrev_b32_e32 v6, 20, v6
	v_and_b32_e32 v6, 0x700000, v6
	v_and_b32_e32 v7, 0x80000000, v7
	v_lshl_add_u32 v0, v0, 23, v27
	v_or3_b32 v7, v7, v0, v6
.LBB4_403:                              ;   in Loop: Header=BB4_377 Depth=2
	s_or_b64 exec, exec, s[72:73]
.LBB4_404:                              ;   in Loop: Header=BB4_377 Depth=2
	s_or_b64 exec, exec, s[62:63]
.LBB4_405:                              ;   in Loop: Header=BB4_377 Depth=2
	s_or_b64 exec, exec, s[16:17]
	v_mul_f32_e32 v10, v10, v7
	v_and_b32_e32 v6, 0x7f800000, v10
	v_mov_b32_e32 v7, v43
	v_cmp_ne_u64_e32 vcc, s[46:47], v[6:7]
                                        ; implicit-def: $vgpr7
	s_and_saveexec_b64 s[16:17], vcc
	s_xor_b64 s[62:63], exec, s[16:17]
	s_cbranch_execz .LBB4_419
; %bb.406:                              ;   in Loop: Header=BB4_377 Depth=2
	v_and_b32_e32 v6, 0x7fffffff, v10
	v_mov_b32_e32 v7, v43
	v_cmp_gt_u64_e32 vcc, s[56:57], v[6:7]
	v_and_b32_sdwa v0, v10, s36 dst_sel:DWORD dst_unused:UNUSED_PAD src0_sel:BYTE_3 src1_sel:DWORD
                                        ; implicit-def: $vgpr7
	s_and_saveexec_b64 s[16:17], vcc
	s_xor_b64 s[72:73], exec, s[16:17]
	s_cbranch_execz .LBB4_416
; %bb.407:                              ;   in Loop: Header=BB4_377 Depth=2
	v_mov_b32_e32 v7, 0
	v_cmp_ne_u32_e32 vcc, 0, v10
	s_and_saveexec_b64 s[74:75], vcc
	s_cbranch_execz .LBB4_415
; %bb.408:                              ;   in Loop: Header=BB4_377 Depth=2
	v_bfe_u32 v7, v10, 23, 8
	v_and_b32_e32 v6, 0x7fffff, v10
	v_cmp_gt_u32_e64 s[16:17], s38, v7
	v_sub_u32_e32 v10, 0x79, v7
	v_cmp_eq_u32_e32 vcc, 0, v7
	v_cndmask_b32_e64 v10, 0, v10, s[16:17]
	v_or_b32_e32 v11, 0x800000, v6
	v_cndmask_b32_e32 v10, v10, v5, vcc
	v_cndmask_b32_e32 v30, v11, v6, vcc
	v_add_u32_e32 v6, 20, v10
	v_lshlrev_b64 v[46:47], v6, -1
	v_mov_b32_e32 v31, v43
	v_add_u32_e32 v6, 19, v10
	v_bfi_b32 v46, v46, 0, v30
	v_lshlrev_b64 v[59:60], v6, 1
	v_lshrrev_b64 v[30:31], v10, v[30:31]
	v_bfi_b32 v47, v47, 0, 0
	v_cmp_eq_u64_e64 s[16:17], v[46:47], v[59:60]
	v_mov_b32_e32 v32, v31
	v_mov_b32_e32 v31, v30
	s_and_saveexec_b64 s[76:77], s[16:17]
; %bb.409:                              ;   in Loop: Header=BB4_377 Depth=2
	v_bfe_u32 v6, v30, 20, 1
	v_add_co_u32_e64 v6, s[16:17], v30, v6
	v_add_co_u32_e64 v31, s[16:17], -1, v6
; %bb.410:                              ;   in Loop: Header=BB4_377 Depth=2
	s_or_b64 exec, exec, s[76:77]
	v_add_u32_e32 v6, 0xffffff81, v7
	v_cndmask_b32_e32 v6, v6, v8, vcc
	v_lshrrev_b32_e32 v7, 23, v30
	v_add3_u32 v10, v10, v6, v7
	v_add_u32_e32 v6, 6, v10
	v_and_b32_e32 v7, 0xfffff, v31
	v_add_u32_e32 v30, v7, v30
	v_mov_b32_e32 v31, v43
	v_cmp_ne_u32_e32 vcc, 0, v6
                                        ; implicit-def: $vgpr7
	s_and_saveexec_b64 s[16:17], vcc
	s_xor_b64 s[16:17], exec, s[16:17]
; %bb.411:                              ;   in Loop: Header=BB4_377 Depth=2
	v_cmp_lt_u64_e32 vcc, s[58:59], v[30:31]
	v_add_u32_e32 v7, 7, v10
	v_cndmask_b32_e32 v7, v6, v7, vcc
	v_cndmask_b32_e64 v6, 0, 1, vcc
	v_lshrrev_b64 v[30:31], v6, v[30:31]
; %bb.412:                              ;   in Loop: Header=BB4_377 Depth=2
	s_andn2_saveexec_b64 s[16:17], s[16:17]
; %bb.413:                              ;   in Loop: Header=BB4_377 Depth=2
	v_bfe_u32 v7, v30, 23, 1
; %bb.414:                              ;   in Loop: Header=BB4_377 Depth=2
	s_or_b64 exec, exec, s[16:17]
	v_lshrrev_b64 v[10:11], 20, v[30:31]
	v_cmp_gt_i32_e32 vcc, 16, v7
	v_cndmask_b32_e32 v11, 0, v11, vcc
	v_cndmask_b32_e32 v10, 7, v10, vcc
	v_min_i32_e32 v6, 15, v7
	v_cmp_eq_u64_e64 s[16:17], 0, v[10:11]
	v_lshlrev_b32_e32 v6, 3, v6
	v_cmp_eq_u32_e32 vcc, 0, v7
	v_and_b32_e32 v6, 0xf8, v6
	v_and_or_b32 v6, v10, 7, v6
	s_and_b64 s[16:17], vcc, s[16:17]
	v_cndmask_b32_e64 v6, v6, 0, s[16:17]
	v_or_b32_e32 v7, v6, v0
.LBB4_415:                              ;   in Loop: Header=BB4_377 Depth=2
	s_or_b64 exec, exec, s[74:75]
                                        ; implicit-def: $vgpr0
.LBB4_416:                              ;   in Loop: Header=BB4_377 Depth=2
	s_andn2_saveexec_b64 s[16:17], s[72:73]
; %bb.417:                              ;   in Loop: Header=BB4_377 Depth=2
	v_or_b32_e32 v7, 0x7e, v0
; %bb.418:                              ;   in Loop: Header=BB4_377 Depth=2
	s_or_b64 exec, exec, s[16:17]
                                        ; implicit-def: $vgpr10
.LBB4_419:                              ;   in Loop: Header=BB4_377 Depth=2
	s_andn2_saveexec_b64 s[16:17], s[62:63]
; %bb.420:                              ;   in Loop: Header=BB4_377 Depth=2
	v_or_b32_sdwa v7, v10, s37 dst_sel:DWORD dst_unused:UNUSED_PAD src0_sel:BYTE_3 src1_sel:DWORD
; %bb.421:                              ;   in Loop: Header=BB4_377 Depth=2
	s_or_b64 exec, exec, s[16:17]
	v_lshrrev_b16_e32 v0, 8, v18
	v_cmp_ne_u16_e32 vcc, 0, v0
	v_mov_b32_e32 v10, 0
	v_mov_b32_e32 v11, 0
	s_and_saveexec_b64 s[16:17], vcc
	s_cbranch_execz .LBB4_427
; %bb.422:                              ;   in Loop: Header=BB4_377 Depth=2
	v_cmp_ne_u16_e32 vcc, s36, v0
	v_bfrev_b32_e32 v11, 1
	s_and_saveexec_b64 s[62:63], vcc
	s_cbranch_execz .LBB4_426
; %bb.423:                              ;   in Loop: Header=BB4_377 Depth=2
	v_and_b32_e32 v6, 0x7f, v0
	v_cmp_ne_u32_e32 vcc, s37, v6
	v_mov_b32_e32 v11, 0x7f800001
	s_and_saveexec_b64 s[72:73], vcc
	s_cbranch_execz .LBB4_425
; %bb.424:                              ;   in Loop: Header=BB4_377 Depth=2
	v_and_b32_e32 v11, 7, v0
	v_lshrrev_b32_e32 v19, 3, v6
	v_cmp_gt_u32_e32 vcc, 8, v6
	v_ffbh_u32_e32 v6, v11
	v_min_u32_e32 v6, 32, v6
	v_subrev_u32_e32 v30, 28, v6
	v_lshlrev_b64 v[30:31], v30, v[0:1]
	v_sub_u32_e32 v0, 29, v6
	v_and_b32_e32 v6, 7, v30
	v_cndmask_b32_e32 v0, v19, v0, vcc
	v_cndmask_b32_e32 v6, v11, v6, vcc
	v_lshlrev_b32_e32 v11, 16, v18
	v_lshlrev_b32_e32 v6, 20, v6
	v_and_b32_e32 v11, 0x80000000, v11
	v_lshl_add_u32 v0, v0, 23, v27
	v_or3_b32 v11, v11, v0, v6
.LBB4_425:                              ;   in Loop: Header=BB4_377 Depth=2
	s_or_b64 exec, exec, s[72:73]
.LBB4_426:                              ;   in Loop: Header=BB4_377 Depth=2
	s_or_b64 exec, exec, s[62:63]
.LBB4_427:                              ;   in Loop: Header=BB4_377 Depth=2
	s_or_b64 exec, exec, s[16:17]
	v_lshrrev_b16_e32 v0, 8, v42
	v_cmp_ne_u16_e32 vcc, 0, v0
	s_and_saveexec_b64 s[16:17], vcc
	s_cbranch_execz .LBB4_433
; %bb.428:                              ;   in Loop: Header=BB4_377 Depth=2
	v_cmp_ne_u16_e32 vcc, s36, v0
	v_bfrev_b32_e32 v10, 1
	s_and_saveexec_b64 s[62:63], vcc
	s_cbranch_execz .LBB4_432
; %bb.429:                              ;   in Loop: Header=BB4_377 Depth=2
	v_and_b32_e32 v6, 0x7f, v0
	v_cmp_ne_u32_e32 vcc, s37, v6
	v_mov_b32_e32 v10, 0x7f800001
	s_and_saveexec_b64 s[72:73], vcc
	s_cbranch_execz .LBB4_431
; %bb.430:                              ;   in Loop: Header=BB4_377 Depth=2
	v_and_b32_e32 v10, 7, v0
	v_lshrrev_b32_e32 v19, 3, v6
	v_cmp_gt_u32_e32 vcc, 8, v6
	v_ffbh_u32_e32 v6, v10
	v_min_u32_e32 v6, 32, v6
	v_subrev_u32_e32 v30, 28, v6
	v_lshlrev_b64 v[30:31], v30, v[0:1]
	v_sub_u32_e32 v0, 29, v6
	v_and_b32_e32 v6, 7, v30
	v_cndmask_b32_e32 v0, v19, v0, vcc
	v_cndmask_b32_e32 v6, v10, v6, vcc
	v_lshlrev_b32_e32 v10, 16, v42
	v_lshlrev_b32_e32 v6, 20, v6
	v_and_b32_e32 v10, 0x80000000, v10
	v_lshl_add_u32 v0, v0, 23, v27
	v_or3_b32 v10, v10, v0, v6
.LBB4_431:                              ;   in Loop: Header=BB4_377 Depth=2
	s_or_b64 exec, exec, s[72:73]
.LBB4_432:                              ;   in Loop: Header=BB4_377 Depth=2
	s_or_b64 exec, exec, s[62:63]
.LBB4_433:                              ;   in Loop: Header=BB4_377 Depth=2
	s_or_b64 exec, exec, s[16:17]
	v_mul_f32_e32 v11, v11, v10
	v_and_b32_e32 v30, 0x7f800000, v11
	v_mov_b32_e32 v31, v43
	v_cmp_ne_u64_e32 vcc, s[46:47], v[30:31]
                                        ; implicit-def: $vgpr10
	s_and_saveexec_b64 s[16:17], vcc
	s_xor_b64 s[62:63], exec, s[16:17]
	s_cbranch_execz .LBB4_447
; %bb.434:                              ;   in Loop: Header=BB4_377 Depth=2
	v_and_b32_e32 v30, 0x7fffffff, v11
	v_mov_b32_e32 v31, v43
	v_cmp_gt_u64_e32 vcc, s[56:57], v[30:31]
	v_and_b32_sdwa v0, v11, s36 dst_sel:DWORD dst_unused:UNUSED_PAD src0_sel:BYTE_3 src1_sel:DWORD
                                        ; implicit-def: $vgpr10
	s_and_saveexec_b64 s[16:17], vcc
	s_xor_b64 s[72:73], exec, s[16:17]
	s_cbranch_execz .LBB4_444
; %bb.435:                              ;   in Loop: Header=BB4_377 Depth=2
	v_mov_b32_e32 v10, 0
	v_cmp_ne_u32_e32 vcc, 0, v11
	s_and_saveexec_b64 s[74:75], vcc
	s_cbranch_execz .LBB4_443
; %bb.436:                              ;   in Loop: Header=BB4_377 Depth=2
	v_bfe_u32 v10, v11, 23, 8
	v_and_b32_e32 v6, 0x7fffff, v11
	v_cmp_gt_u32_e64 s[16:17], s38, v10
	v_sub_u32_e32 v11, 0x79, v10
	v_cmp_eq_u32_e32 vcc, 0, v10
	v_cndmask_b32_e64 v11, 0, v11, s[16:17]
	v_or_b32_e32 v19, 0x800000, v6
	v_cndmask_b32_e32 v11, v11, v5, vcc
	v_cndmask_b32_e32 v30, v19, v6, vcc
	v_add_u32_e32 v6, 20, v11
	v_lshlrev_b64 v[46:47], v6, -1
	v_mov_b32_e32 v31, v43
	v_add_u32_e32 v6, 19, v11
	v_bfi_b32 v46, v46, 0, v30
	v_lshlrev_b64 v[59:60], v6, 1
	v_lshrrev_b64 v[30:31], v11, v[30:31]
	v_bfi_b32 v47, v47, 0, 0
	v_cmp_eq_u64_e64 s[16:17], v[46:47], v[59:60]
	v_mov_b32_e32 v32, v31
	v_mov_b32_e32 v31, v30
	s_and_saveexec_b64 s[76:77], s[16:17]
; %bb.437:                              ;   in Loop: Header=BB4_377 Depth=2
	v_bfe_u32 v6, v30, 20, 1
	v_add_co_u32_e64 v6, s[16:17], v30, v6
	v_add_co_u32_e64 v31, s[16:17], -1, v6
; %bb.438:                              ;   in Loop: Header=BB4_377 Depth=2
	s_or_b64 exec, exec, s[76:77]
	v_add_u32_e32 v6, 0xffffff81, v10
	v_cndmask_b32_e32 v6, v6, v8, vcc
	v_lshrrev_b32_e32 v10, 23, v30
	v_add3_u32 v11, v11, v6, v10
	v_add_u32_e32 v6, 6, v11
	v_and_b32_e32 v10, 0xfffff, v31
	v_add_u32_e32 v30, v10, v30
	v_mov_b32_e32 v31, v43
	v_cmp_ne_u32_e32 vcc, 0, v6
                                        ; implicit-def: $vgpr10
	s_and_saveexec_b64 s[16:17], vcc
	s_xor_b64 s[16:17], exec, s[16:17]
; %bb.439:                              ;   in Loop: Header=BB4_377 Depth=2
	v_cmp_lt_u64_e32 vcc, s[58:59], v[30:31]
	v_add_u32_e32 v10, 7, v11
	v_cndmask_b32_e32 v10, v6, v10, vcc
	v_cndmask_b32_e64 v6, 0, 1, vcc
	v_lshrrev_b64 v[30:31], v6, v[30:31]
; %bb.440:                              ;   in Loop: Header=BB4_377 Depth=2
	s_andn2_saveexec_b64 s[16:17], s[16:17]
; %bb.441:                              ;   in Loop: Header=BB4_377 Depth=2
	v_bfe_u32 v10, v30, 23, 1
; %bb.442:                              ;   in Loop: Header=BB4_377 Depth=2
	s_or_b64 exec, exec, s[16:17]
	v_lshrrev_b64 v[30:31], 20, v[30:31]
	v_cmp_gt_i32_e32 vcc, 16, v10
	v_cndmask_b32_e32 v31, 0, v31, vcc
	v_cndmask_b32_e32 v30, 7, v30, vcc
	v_min_i32_e32 v6, 15, v10
	v_cmp_eq_u64_e64 s[16:17], 0, v[30:31]
	v_lshlrev_b32_e32 v6, 3, v6
	v_cmp_eq_u32_e32 vcc, 0, v10
	v_and_b32_e32 v6, 0xf8, v6
	v_and_or_b32 v6, v30, 7, v6
	s_and_b64 s[16:17], vcc, s[16:17]
	v_cndmask_b32_e64 v6, v6, 0, s[16:17]
	v_or_b32_e32 v10, v6, v0
.LBB4_443:                              ;   in Loop: Header=BB4_377 Depth=2
	s_or_b64 exec, exec, s[74:75]
                                        ; implicit-def: $vgpr0
.LBB4_444:                              ;   in Loop: Header=BB4_377 Depth=2
	s_andn2_saveexec_b64 s[16:17], s[72:73]
; %bb.445:                              ;   in Loop: Header=BB4_377 Depth=2
	v_or_b32_e32 v10, 0x7e, v0
; %bb.446:                              ;   in Loop: Header=BB4_377 Depth=2
	s_or_b64 exec, exec, s[16:17]
                                        ; implicit-def: $vgpr11
.LBB4_447:                              ;   in Loop: Header=BB4_377 Depth=2
	s_andn2_saveexec_b64 s[16:17], s[62:63]
; %bb.448:                              ;   in Loop: Header=BB4_377 Depth=2
	v_or_b32_sdwa v10, v11, s37 dst_sel:DWORD dst_unused:UNUSED_PAD src0_sel:BYTE_3 src1_sel:DWORD
; %bb.449:                              ;   in Loop: Header=BB4_377 Depth=2
	s_or_b64 exec, exec, s[16:17]
	v_lshrrev_b32_e32 v0, 16, v18
	v_cmp_ne_u16_sdwa s[62:63], v0, v43 src0_sel:BYTE_0 src1_sel:DWORD
	v_mov_b32_e32 v11, 0
	v_mov_b32_e32 v19, 0
	s_and_saveexec_b64 s[16:17], s[62:63]
	s_cbranch_execz .LBB4_455
; %bb.450:                              ;   in Loop: Header=BB4_377 Depth=2
	v_cmp_ne_u16_sdwa s[72:73], v0, s36 src0_sel:BYTE_0 src1_sel:DWORD
	v_bfrev_b32_e32 v19, 1
	s_and_saveexec_b64 s[62:63], s[72:73]
	s_cbranch_execz .LBB4_454
; %bb.451:                              ;   in Loop: Header=BB4_377 Depth=2
	v_bfe_u32 v6, v18, 16, 7
	v_cmp_ne_u32_e32 vcc, s37, v6
	v_mov_b32_e32 v19, 0x7f800001
	s_and_saveexec_b64 s[72:73], vcc
	s_cbranch_execz .LBB4_453
; %bb.452:                              ;   in Loop: Header=BB4_377 Depth=2
	v_and_b32_e32 v19, 7, v0
	v_lshrrev_b32_e32 v32, 3, v6
	v_cmp_gt_u32_e32 vcc, 8, v6
	v_ffbh_u32_e32 v6, v19
	v_min_u32_e32 v6, 32, v6
	v_subrev_u32_e32 v30, 28, v6
	v_lshlrev_b64 v[30:31], v30, v[0:1]
	v_sub_u32_e32 v6, 29, v6
	v_and_b32_e32 v30, 7, v30
	v_cndmask_b32_e32 v6, v32, v6, vcc
	v_cndmask_b32_e32 v19, v19, v30, vcc
	v_lshlrev_b32_e32 v0, 24, v0
	v_lshlrev_b32_e32 v19, 20, v19
	v_and_b32_e32 v0, 0x80000000, v0
	v_lshl_add_u32 v6, v6, 23, v27
	v_or3_b32 v19, v0, v6, v19
.LBB4_453:                              ;   in Loop: Header=BB4_377 Depth=2
	s_or_b64 exec, exec, s[72:73]
.LBB4_454:                              ;   in Loop: Header=BB4_377 Depth=2
	s_or_b64 exec, exec, s[62:63]
.LBB4_455:                              ;   in Loop: Header=BB4_377 Depth=2
	s_or_b64 exec, exec, s[16:17]
	v_and_b32_sdwa v6, v42, s35 dst_sel:DWORD dst_unused:UNUSED_PAD src0_sel:WORD_1 src1_sel:DWORD
	v_lshrrev_b32_e32 v0, 16, v42
	v_cmp_ne_u16_e32 vcc, 0, v6
	s_and_saveexec_b64 s[16:17], vcc
	s_cbranch_execz .LBB4_461
; %bb.456:                              ;   in Loop: Header=BB4_377 Depth=2
	v_cmp_ne_u16_e32 vcc, s36, v6
	v_bfrev_b32_e32 v11, 1
	s_and_saveexec_b64 s[62:63], vcc
	s_cbranch_execz .LBB4_460
; %bb.457:                              ;   in Loop: Header=BB4_377 Depth=2
	v_bfe_u32 v6, v42, 16, 7
	v_cmp_ne_u32_e32 vcc, s37, v6
	v_mov_b32_e32 v11, 0x7f800001
	s_and_saveexec_b64 s[72:73], vcc
	s_cbranch_execz .LBB4_459
; %bb.458:                              ;   in Loop: Header=BB4_377 Depth=2
	v_and_b32_e32 v11, 7, v0
	v_lshrrev_b32_e32 v32, 3, v6
	v_cmp_gt_u32_e32 vcc, 8, v6
	v_ffbh_u32_e32 v6, v11
	v_min_u32_e32 v6, 32, v6
	v_subrev_u32_e32 v30, 28, v6
	v_lshlrev_b64 v[30:31], v30, v[0:1]
	v_sub_u32_e32 v0, 29, v6
	v_and_b32_e32 v6, 7, v30
	v_cndmask_b32_e32 v0, v32, v0, vcc
	v_cndmask_b32_e32 v6, v11, v6, vcc
	v_lshlrev_b32_e32 v11, 8, v42
	v_lshlrev_b32_e32 v6, 20, v6
	v_and_b32_e32 v11, 0x80000000, v11
	v_lshl_add_u32 v0, v0, 23, v27
	v_or3_b32 v11, v11, v0, v6
.LBB4_459:                              ;   in Loop: Header=BB4_377 Depth=2
	s_or_b64 exec, exec, s[72:73]
.LBB4_460:                              ;   in Loop: Header=BB4_377 Depth=2
	s_or_b64 exec, exec, s[62:63]
.LBB4_461:                              ;   in Loop: Header=BB4_377 Depth=2
	s_or_b64 exec, exec, s[16:17]
	v_mul_f32_e32 v19, v19, v11
	v_and_b32_e32 v30, 0x7f800000, v19
	v_mov_b32_e32 v31, v43
	v_cmp_ne_u64_e32 vcc, s[46:47], v[30:31]
                                        ; implicit-def: $vgpr11
	s_and_saveexec_b64 s[16:17], vcc
	s_xor_b64 s[62:63], exec, s[16:17]
	s_cbranch_execz .LBB4_475
; %bb.462:                              ;   in Loop: Header=BB4_377 Depth=2
	v_and_b32_e32 v30, 0x7fffffff, v19
	v_mov_b32_e32 v31, v43
	v_cmp_gt_u64_e32 vcc, s[56:57], v[30:31]
	v_and_b32_sdwa v0, v19, s36 dst_sel:DWORD dst_unused:UNUSED_PAD src0_sel:BYTE_3 src1_sel:DWORD
                                        ; implicit-def: $vgpr11
	s_and_saveexec_b64 s[16:17], vcc
	s_xor_b64 s[72:73], exec, s[16:17]
	s_cbranch_execz .LBB4_472
; %bb.463:                              ;   in Loop: Header=BB4_377 Depth=2
	v_mov_b32_e32 v11, 0
	v_cmp_ne_u32_e32 vcc, 0, v19
	s_and_saveexec_b64 s[74:75], vcc
	s_cbranch_execz .LBB4_471
; %bb.464:                              ;   in Loop: Header=BB4_377 Depth=2
	v_bfe_u32 v11, v19, 23, 8
	v_and_b32_e32 v6, 0x7fffff, v19
	v_cmp_gt_u32_e64 s[16:17], s38, v11
	v_sub_u32_e32 v19, 0x79, v11
	v_cmp_eq_u32_e32 vcc, 0, v11
	v_cndmask_b32_e64 v19, 0, v19, s[16:17]
	v_or_b32_e32 v30, 0x800000, v6
	v_cndmask_b32_e32 v19, v19, v5, vcc
	v_cndmask_b32_e32 v30, v30, v6, vcc
	v_add_u32_e32 v6, 20, v19
	v_lshlrev_b64 v[46:47], v6, -1
	v_mov_b32_e32 v31, v43
	v_add_u32_e32 v6, 19, v19
	v_bfi_b32 v46, v46, 0, v30
	v_lshlrev_b64 v[59:60], v6, 1
	v_lshrrev_b64 v[30:31], v19, v[30:31]
	v_bfi_b32 v47, v47, 0, 0
	v_cmp_eq_u64_e64 s[16:17], v[46:47], v[59:60]
	v_mov_b32_e32 v32, v31
	v_mov_b32_e32 v31, v30
	s_and_saveexec_b64 s[76:77], s[16:17]
; %bb.465:                              ;   in Loop: Header=BB4_377 Depth=2
	v_bfe_u32 v6, v30, 20, 1
	v_add_co_u32_e64 v6, s[16:17], v30, v6
	v_add_co_u32_e64 v31, s[16:17], -1, v6
; %bb.466:                              ;   in Loop: Header=BB4_377 Depth=2
	s_or_b64 exec, exec, s[76:77]
	v_add_u32_e32 v6, 0xffffff81, v11
	v_cndmask_b32_e32 v6, v6, v8, vcc
	v_lshrrev_b32_e32 v11, 23, v30
	v_add3_u32 v19, v19, v6, v11
	v_add_u32_e32 v6, 6, v19
	v_and_b32_e32 v11, 0xfffff, v31
	v_add_u32_e32 v30, v11, v30
	v_mov_b32_e32 v31, v43
	v_cmp_ne_u32_e32 vcc, 0, v6
                                        ; implicit-def: $vgpr11
	s_and_saveexec_b64 s[16:17], vcc
	s_xor_b64 s[16:17], exec, s[16:17]
; %bb.467:                              ;   in Loop: Header=BB4_377 Depth=2
	v_cmp_lt_u64_e32 vcc, s[58:59], v[30:31]
	v_add_u32_e32 v11, 7, v19
	v_cndmask_b32_e32 v11, v6, v11, vcc
	v_cndmask_b32_e64 v6, 0, 1, vcc
	v_lshrrev_b64 v[30:31], v6, v[30:31]
; %bb.468:                              ;   in Loop: Header=BB4_377 Depth=2
	s_andn2_saveexec_b64 s[16:17], s[16:17]
; %bb.469:                              ;   in Loop: Header=BB4_377 Depth=2
	v_bfe_u32 v11, v30, 23, 1
; %bb.470:                              ;   in Loop: Header=BB4_377 Depth=2
	s_or_b64 exec, exec, s[16:17]
	v_lshrrev_b64 v[30:31], 20, v[30:31]
	v_cmp_gt_i32_e32 vcc, 16, v11
	v_cndmask_b32_e32 v31, 0, v31, vcc
	v_cndmask_b32_e32 v30, 7, v30, vcc
	v_min_i32_e32 v6, 15, v11
	v_cmp_eq_u64_e64 s[16:17], 0, v[30:31]
	v_lshlrev_b32_e32 v6, 3, v6
	v_cmp_eq_u32_e32 vcc, 0, v11
	v_and_b32_e32 v6, 0xf8, v6
	v_and_or_b32 v6, v30, 7, v6
	s_and_b64 s[16:17], vcc, s[16:17]
	v_cndmask_b32_e64 v6, v6, 0, s[16:17]
	v_or_b32_e32 v11, v6, v0
.LBB4_471:                              ;   in Loop: Header=BB4_377 Depth=2
	s_or_b64 exec, exec, s[74:75]
                                        ; implicit-def: $vgpr0
.LBB4_472:                              ;   in Loop: Header=BB4_377 Depth=2
	s_andn2_saveexec_b64 s[16:17], s[72:73]
; %bb.473:                              ;   in Loop: Header=BB4_377 Depth=2
	v_or_b32_e32 v11, 0x7e, v0
; %bb.474:                              ;   in Loop: Header=BB4_377 Depth=2
	s_or_b64 exec, exec, s[16:17]
                                        ; implicit-def: $vgpr19
.LBB4_475:                              ;   in Loop: Header=BB4_377 Depth=2
	s_andn2_saveexec_b64 s[16:17], s[62:63]
; %bb.476:                              ;   in Loop: Header=BB4_377 Depth=2
	v_or_b32_sdwa v11, v19, s37 dst_sel:DWORD dst_unused:UNUSED_PAD src0_sel:BYTE_3 src1_sel:DWORD
; %bb.477:                              ;   in Loop: Header=BB4_377 Depth=2
	s_or_b64 exec, exec, s[16:17]
	v_cmp_lt_u32_e32 vcc, s39, v18
	v_mov_b32_e32 v19, 0
	v_mov_b32_e32 v30, 0
	s_and_saveexec_b64 s[16:17], vcc
	s_cbranch_execz .LBB4_483
; %bb.478:                              ;   in Loop: Header=BB4_377 Depth=2
	v_lshrrev_b32_e32 v0, 24, v18
	v_cmp_ne_u32_e32 vcc, s36, v0
	v_bfrev_b32_e32 v30, 1
	s_and_saveexec_b64 s[62:63], vcc
	s_cbranch_execz .LBB4_482
; %bb.479:                              ;   in Loop: Header=BB4_377 Depth=2
	v_bfe_u32 v6, v18, 24, 7
	v_cmp_ne_u32_e32 vcc, s37, v6
	v_mov_b32_e32 v30, 0x7f800001
	s_and_saveexec_b64 s[72:73], vcc
	s_cbranch_execz .LBB4_481
; %bb.480:                              ;   in Loop: Header=BB4_377 Depth=2
	v_and_b32_e32 v18, 7, v0
	v_lshrrev_b32_e32 v32, 3, v6
	v_cmp_gt_u32_e32 vcc, 8, v6
	v_ffbh_u32_e32 v6, v18
	v_min_u32_e32 v6, 32, v6
	v_subrev_u32_e32 v30, 28, v6
	v_lshlrev_b64 v[30:31], v30, v[0:1]
	v_sub_u32_e32 v6, 29, v6
	v_and_b32_e32 v30, 7, v30
	v_cndmask_b32_e32 v6, v32, v6, vcc
	v_cndmask_b32_e32 v18, v18, v30, vcc
	v_lshlrev_b32_e32 v0, 24, v0
	v_lshlrev_b32_e32 v18, 20, v18
	v_and_b32_e32 v0, 0x80000000, v0
	v_lshl_add_u32 v6, v6, 23, v27
	v_or3_b32 v30, v0, v6, v18
.LBB4_481:                              ;   in Loop: Header=BB4_377 Depth=2
	s_or_b64 exec, exec, s[72:73]
.LBB4_482:                              ;   in Loop: Header=BB4_377 Depth=2
	s_or_b64 exec, exec, s[62:63]
.LBB4_483:                              ;   in Loop: Header=BB4_377 Depth=2
	s_or_b64 exec, exec, s[16:17]
	v_cmp_lt_u32_e32 vcc, s39, v42
	s_and_saveexec_b64 s[16:17], vcc
	s_cbranch_execz .LBB4_489
; %bb.484:                              ;   in Loop: Header=BB4_377 Depth=2
	v_lshrrev_b32_e32 v0, 24, v42
	v_cmp_ne_u32_sdwa s[72:73], v42, s36 src0_sel:BYTE_3 src1_sel:DWORD
	v_bfrev_b32_e32 v19, 1
	s_and_saveexec_b64 s[62:63], s[72:73]
	s_cbranch_execz .LBB4_488
; %bb.485:                              ;   in Loop: Header=BB4_377 Depth=2
	v_bfe_u32 v6, v42, 24, 7
	v_cmp_ne_u32_e32 vcc, s37, v6
	v_mov_b32_e32 v19, 0x7f800001
	s_and_saveexec_b64 s[72:73], vcc
	s_cbranch_execz .LBB4_487
; %bb.486:                              ;   in Loop: Header=BB4_377 Depth=2
	v_and_b32_e32 v31, 7, v0
	v_lshrrev_b32_e32 v32, 3, v6
	v_cmp_gt_u32_e32 vcc, 8, v6
	v_ffbh_u32_e32 v6, v31
	v_min_u32_e32 v6, 32, v6
	v_subrev_u32_e32 v18, 28, v6
	v_lshlrev_b64 v[18:19], v18, v[0:1]
	v_sub_u32_e32 v0, 29, v6
	v_and_b32_e32 v6, 7, v18
	v_cndmask_b32_e32 v0, v32, v0, vcc
	v_cndmask_b32_e32 v6, v31, v6, vcc
	v_lshlrev_b32_sdwa v18, v9, v42 dst_sel:DWORD dst_unused:UNUSED_PAD src0_sel:DWORD src1_sel:BYTE_3
	v_lshlrev_b32_e32 v6, 20, v6
	v_and_b32_e32 v18, 0x80000000, v18
	v_lshl_add_u32 v0, v0, 23, v27
	v_or3_b32 v19, v18, v0, v6
.LBB4_487:                              ;   in Loop: Header=BB4_377 Depth=2
	s_or_b64 exec, exec, s[72:73]
.LBB4_488:                              ;   in Loop: Header=BB4_377 Depth=2
	s_or_b64 exec, exec, s[62:63]
.LBB4_489:                              ;   in Loop: Header=BB4_377 Depth=2
	s_or_b64 exec, exec, s[16:17]
	v_mul_f32_e32 v18, v30, v19
	v_and_b32_e32 v42, 0x7f800000, v18
	v_cmp_ne_u64_e32 vcc, s[46:47], v[42:43]
                                        ; implicit-def: $vgpr32
	s_and_saveexec_b64 s[16:17], vcc
	s_xor_b64 s[62:63], exec, s[16:17]
	s_cbranch_execz .LBB4_503
; %bb.490:                              ;   in Loop: Header=BB4_377 Depth=2
	v_and_b32_e32 v42, 0x7fffffff, v18
	v_cmp_gt_u64_e32 vcc, s[56:57], v[42:43]
	v_and_b32_sdwa v0, v18, s36 dst_sel:DWORD dst_unused:UNUSED_PAD src0_sel:BYTE_3 src1_sel:DWORD
                                        ; implicit-def: $vgpr32
	s_and_saveexec_b64 s[16:17], vcc
	s_xor_b64 s[72:73], exec, s[16:17]
	s_cbranch_execz .LBB4_500
; %bb.491:                              ;   in Loop: Header=BB4_377 Depth=2
	v_mov_b32_e32 v32, 0
	v_cmp_ne_u32_e32 vcc, 0, v18
	s_and_saveexec_b64 s[74:75], vcc
	s_cbranch_execz .LBB4_499
; %bb.492:                              ;   in Loop: Header=BB4_377 Depth=2
	v_bfe_u32 v32, v18, 23, 8
	v_and_b32_e32 v6, 0x7fffff, v18
	v_cmp_gt_u32_e64 s[16:17], s38, v32
	v_sub_u32_e32 v18, 0x79, v32
	v_cmp_eq_u32_e32 vcc, 0, v32
	v_cndmask_b32_e64 v18, 0, v18, s[16:17]
	v_or_b32_e32 v19, 0x800000, v6
	v_cndmask_b32_e32 v41, v18, v5, vcc
	v_cndmask_b32_e32 v42, v19, v6, vcc
	v_add_u32_e32 v6, 20, v41
	v_lshlrev_b64 v[18:19], v6, -1
	v_add_u32_e32 v6, 19, v41
	v_lshlrev_b64 v[30:31], v6, 1
	v_bfi_b32 v19, v19, 0, 0
	v_bfi_b32 v18, v18, 0, v42
	v_cmp_eq_u64_e64 s[16:17], v[18:19], v[30:31]
	v_lshrrev_b64 v[18:19], v41, v[42:43]
	v_mov_b32_e32 v31, v19
	v_mov_b32_e32 v30, v18
	s_and_saveexec_b64 s[76:77], s[16:17]
; %bb.493:                              ;   in Loop: Header=BB4_377 Depth=2
	v_bfe_u32 v6, v18, 20, 1
	v_add_co_u32_e64 v6, s[16:17], v18, v6
	v_add_co_u32_e64 v30, s[16:17], -1, v6
; %bb.494:                              ;   in Loop: Header=BB4_377 Depth=2
	s_or_b64 exec, exec, s[76:77]
	v_add_u32_e32 v6, 0xffffff81, v32
	v_cndmask_b32_e32 v6, v6, v8, vcc
	v_lshrrev_b32_e32 v19, 23, v18
	v_add3_u32 v31, v41, v6, v19
	v_add_u32_e32 v6, 6, v31
	v_and_b32_e32 v19, 0xfffff, v30
	v_add_u32_e32 v42, v19, v18
	v_cmp_ne_u32_e32 vcc, 0, v6
                                        ; implicit-def: $vgpr18_vgpr19
                                        ; implicit-def: $vgpr30
	s_and_saveexec_b64 s[16:17], vcc
	s_xor_b64 s[16:17], exec, s[16:17]
; %bb.495:                              ;   in Loop: Header=BB4_377 Depth=2
	v_cmp_lt_u64_e32 vcc, s[58:59], v[42:43]
	v_add_u32_e32 v18, 7, v31
	v_cndmask_b32_e32 v30, v6, v18, vcc
	v_cndmask_b32_e64 v6, 0, 1, vcc
	v_lshrrev_b64 v[18:19], v6, v[42:43]
; %bb.496:                              ;   in Loop: Header=BB4_377 Depth=2
	s_andn2_saveexec_b64 s[16:17], s[16:17]
; %bb.497:                              ;   in Loop: Header=BB4_377 Depth=2
	v_mov_b32_e32 v18, v42
	v_bfe_u32 v30, v42, 23, 1
	v_mov_b32_e32 v19, v43
; %bb.498:                              ;   in Loop: Header=BB4_377 Depth=2
	s_or_b64 exec, exec, s[16:17]
	v_lshrrev_b64 v[18:19], 20, v[18:19]
	v_cmp_gt_i32_e32 vcc, 16, v30
	v_cndmask_b32_e32 v19, 0, v19, vcc
	v_cndmask_b32_e32 v18, 7, v18, vcc
	v_min_i32_e32 v6, 15, v30
	v_cmp_eq_u64_e64 s[16:17], 0, v[18:19]
	v_lshlrev_b32_e32 v6, 3, v6
	v_cmp_eq_u32_e32 vcc, 0, v30
	v_and_b32_e32 v6, 0xf8, v6
	v_and_or_b32 v6, v18, 7, v6
	s_and_b64 s[16:17], vcc, s[16:17]
	v_cndmask_b32_e64 v6, v6, 0, s[16:17]
	v_or_b32_e32 v32, v6, v0
.LBB4_499:                              ;   in Loop: Header=BB4_377 Depth=2
	s_or_b64 exec, exec, s[74:75]
                                        ; implicit-def: $vgpr0
.LBB4_500:                              ;   in Loop: Header=BB4_377 Depth=2
	s_andn2_saveexec_b64 s[16:17], s[72:73]
; %bb.501:                              ;   in Loop: Header=BB4_377 Depth=2
	v_or_b32_e32 v32, 0x7e, v0
; %bb.502:                              ;   in Loop: Header=BB4_377 Depth=2
	s_or_b64 exec, exec, s[16:17]
                                        ; implicit-def: $vgpr18
.LBB4_503:                              ;   in Loop: Header=BB4_377 Depth=2
	s_andn2_saveexec_b64 s[16:17], s[62:63]
; %bb.504:                              ;   in Loop: Header=BB4_377 Depth=2
	v_or_b32_sdwa v32, v18, s37 dst_sel:DWORD dst_unused:UNUSED_PAD src0_sel:BYTE_3 src1_sel:DWORD
; %bb.505:                              ;   in Loop: Header=BB4_377 Depth=2
	s_or_b64 exec, exec, s[16:17]
	v_cmp_ne_u16_sdwa s[62:63], v20, v43 src0_sel:BYTE_0 src1_sel:DWORD
	v_mov_b32_e32 v0, 0
	v_mov_b32_e32 v18, 0
	s_and_saveexec_b64 s[16:17], s[62:63]
	s_cbranch_execz .LBB4_511
; %bb.506:                              ;   in Loop: Header=BB4_377 Depth=2
	v_cmp_ne_u16_sdwa s[72:73], v20, s36 src0_sel:BYTE_0 src1_sel:DWORD
	v_bfrev_b32_e32 v18, 1
	s_and_saveexec_b64 s[62:63], s[72:73]
	s_cbranch_execz .LBB4_510
; %bb.507:                              ;   in Loop: Header=BB4_377 Depth=2
	v_and_b32_e32 v6, 0x7f, v20
	v_cmp_ne_u32_e32 vcc, s37, v6
	v_mov_b32_e32 v18, 0x7f800001
	s_and_saveexec_b64 s[72:73], vcc
	s_cbranch_execz .LBB4_509
; %bb.508:                              ;   in Loop: Header=BB4_377 Depth=2
	v_and_b32_e32 v18, 7, v20
	v_lshrrev_b32_e32 v19, 3, v6
	v_cmp_gt_u32_e32 vcc, 8, v6
	v_ffbh_u32_e32 v6, v18
	v_min_u32_e32 v6, 32, v6
	v_subrev_u32_e32 v18, 28, v6
	v_sub_u32_e32 v6, 29, v6
	v_cndmask_b32_e32 v18, 0, v18, vcc
	v_cndmask_b32_e32 v6, v19, v6, vcc
	v_lshlrev_b64 v[18:19], v18, v[20:21]
	v_lshlrev_b32_e32 v19, 24, v20
	v_lshlrev_b32_e32 v18, 20, v18
	v_and_b32_e32 v18, 0x700000, v18
	v_and_b32_e32 v19, 0x80000000, v19
	v_lshl_add_u32 v6, v6, 23, v27
	v_or3_b32 v18, v19, v6, v18
.LBB4_509:                              ;   in Loop: Header=BB4_377 Depth=2
	s_or_b64 exec, exec, s[72:73]
.LBB4_510:                              ;   in Loop: Header=BB4_377 Depth=2
	s_or_b64 exec, exec, s[62:63]
.LBB4_511:                              ;   in Loop: Header=BB4_377 Depth=2
	s_or_b64 exec, exec, s[16:17]
	v_alignbit_b32 v42, v34, v35, v33
	v_cmp_ne_u16_sdwa s[62:63], v42, v43 src0_sel:BYTE_0 src1_sel:DWORD
	s_and_saveexec_b64 s[16:17], s[62:63]
	s_cbranch_execz .LBB4_517
; %bb.512:                              ;   in Loop: Header=BB4_377 Depth=2
	v_cmp_ne_u16_sdwa s[72:73], v42, s36 src0_sel:BYTE_0 src1_sel:DWORD
	v_bfrev_b32_e32 v0, 1
	s_and_saveexec_b64 s[62:63], s[72:73]
	s_cbranch_execz .LBB4_516
; %bb.513:                              ;   in Loop: Header=BB4_377 Depth=2
	v_and_b32_e32 v6, 0x7f, v42
	v_cmp_ne_u32_e32 vcc, s37, v6
	v_mov_b32_e32 v0, 0x7f800001
	s_and_saveexec_b64 s[72:73], vcc
	s_cbranch_execz .LBB4_515
; %bb.514:                              ;   in Loop: Header=BB4_377 Depth=2
	v_and_b32_e32 v0, 7, v42
	v_ffbh_u32_e32 v0, v0
	v_min_u32_e32 v0, 32, v0
	v_lshrrev_b32_e32 v19, 3, v6
	v_cmp_gt_u32_e32 vcc, 8, v6
	v_subrev_u32_e32 v6, 28, v0
	v_cndmask_b32_e32 v6, 0, v6, vcc
	v_lshlrev_b64 v[30:31], v6, v[42:43]
	v_sub_u32_e32 v0, 29, v0
	v_cndmask_b32_e32 v0, v19, v0, vcc
	v_lshlrev_b32_e32 v6, 20, v30
	v_lshlrev_b32_e32 v19, 24, v42
	v_and_b32_e32 v6, 0x700000, v6
	v_and_b32_e32 v19, 0x80000000, v19
	v_lshl_add_u32 v0, v0, 23, v27
	v_or3_b32 v0, v19, v0, v6
.LBB4_515:                              ;   in Loop: Header=BB4_377 Depth=2
	s_or_b64 exec, exec, s[72:73]
.LBB4_516:                              ;   in Loop: Header=BB4_377 Depth=2
	s_or_b64 exec, exec, s[62:63]
.LBB4_517:                              ;   in Loop: Header=BB4_377 Depth=2
	s_or_b64 exec, exec, s[16:17]
	v_mul_f32_e32 v18, v18, v0
	v_and_b32_e32 v30, 0x7f800000, v18
	v_mov_b32_e32 v31, v43
	v_cmp_ne_u64_e32 vcc, s[46:47], v[30:31]
                                        ; implicit-def: $vgpr21
	s_and_saveexec_b64 s[16:17], vcc
	s_xor_b64 s[62:63], exec, s[16:17]
	s_cbranch_execz .LBB4_531
; %bb.518:                              ;   in Loop: Header=BB4_377 Depth=2
	v_and_b32_e32 v30, 0x7fffffff, v18
	v_mov_b32_e32 v31, v43
	v_cmp_gt_u64_e32 vcc, s[56:57], v[30:31]
	v_and_b32_sdwa v0, v18, s36 dst_sel:DWORD dst_unused:UNUSED_PAD src0_sel:BYTE_3 src1_sel:DWORD
                                        ; implicit-def: $vgpr21
	s_and_saveexec_b64 s[16:17], vcc
	s_xor_b64 s[72:73], exec, s[16:17]
	s_cbranch_execz .LBB4_528
; %bb.519:                              ;   in Loop: Header=BB4_377 Depth=2
	v_mov_b32_e32 v21, 0
	v_cmp_ne_u32_e32 vcc, 0, v18
	s_and_saveexec_b64 s[74:75], vcc
	s_cbranch_execz .LBB4_527
; %bb.520:                              ;   in Loop: Header=BB4_377 Depth=2
	v_bfe_u32 v21, v18, 23, 8
	v_and_b32_e32 v6, 0x7fffff, v18
	v_cmp_gt_u32_e64 s[16:17], s38, v21
	v_sub_u32_e32 v18, 0x79, v21
	v_cmp_eq_u32_e32 vcc, 0, v21
	v_cndmask_b32_e64 v18, 0, v18, s[16:17]
	v_or_b32_e32 v19, 0x800000, v6
	v_cndmask_b32_e32 v33, v18, v5, vcc
	v_cndmask_b32_e32 v18, v19, v6, vcc
	v_add_u32_e32 v6, 20, v33
	v_lshlrev_b64 v[30:31], v6, -1
	v_mov_b32_e32 v19, v43
	v_add_u32_e32 v6, 19, v33
	v_bfi_b32 v30, v30, 0, v18
	v_lshlrev_b64 v[34:35], v6, 1
	v_lshrrev_b64 v[18:19], v33, v[18:19]
	v_bfi_b32 v31, v31, 0, 0
	v_cmp_eq_u64_e64 s[16:17], v[30:31], v[34:35]
	v_mov_b32_e32 v31, v19
	v_mov_b32_e32 v30, v18
	s_and_saveexec_b64 s[76:77], s[16:17]
; %bb.521:                              ;   in Loop: Header=BB4_377 Depth=2
	v_bfe_u32 v6, v18, 20, 1
	v_add_co_u32_e64 v6, s[16:17], v18, v6
	v_add_co_u32_e64 v30, s[16:17], -1, v6
; %bb.522:                              ;   in Loop: Header=BB4_377 Depth=2
	s_or_b64 exec, exec, s[76:77]
	v_add_u32_e32 v6, 0xffffff81, v21
	v_cndmask_b32_e32 v6, v6, v8, vcc
	v_lshrrev_b32_e32 v19, 23, v18
	v_add3_u32 v31, v33, v6, v19
	v_add_u32_e32 v6, 6, v31
	v_and_b32_e32 v19, 0xfffff, v30
	v_add_u32_e32 v18, v19, v18
	v_mov_b32_e32 v19, v43
	v_cmp_ne_u32_e32 vcc, 0, v6
                                        ; implicit-def: $vgpr21
	s_and_saveexec_b64 s[16:17], vcc
	s_xor_b64 s[16:17], exec, s[16:17]
; %bb.523:                              ;   in Loop: Header=BB4_377 Depth=2
	v_cmp_lt_u64_e32 vcc, s[58:59], v[18:19]
	v_add_u32_e32 v21, 7, v31
	v_cndmask_b32_e32 v21, v6, v21, vcc
	v_cndmask_b32_e64 v6, 0, 1, vcc
	v_lshrrev_b64 v[18:19], v6, v[18:19]
; %bb.524:                              ;   in Loop: Header=BB4_377 Depth=2
	s_andn2_saveexec_b64 s[16:17], s[16:17]
; %bb.525:                              ;   in Loop: Header=BB4_377 Depth=2
	v_bfe_u32 v21, v18, 23, 1
; %bb.526:                              ;   in Loop: Header=BB4_377 Depth=2
	s_or_b64 exec, exec, s[16:17]
	v_lshrrev_b64 v[18:19], 20, v[18:19]
	v_cmp_gt_i32_e32 vcc, 16, v21
	v_cndmask_b32_e32 v19, 0, v19, vcc
	v_cndmask_b32_e32 v18, 7, v18, vcc
	v_min_i32_e32 v6, 15, v21
	v_cmp_eq_u64_e64 s[16:17], 0, v[18:19]
	v_lshlrev_b32_e32 v6, 3, v6
	v_cmp_eq_u32_e32 vcc, 0, v21
	v_and_b32_e32 v6, 0xf8, v6
	v_and_or_b32 v6, v18, 7, v6
	s_and_b64 s[16:17], vcc, s[16:17]
	v_cndmask_b32_e64 v6, v6, 0, s[16:17]
	v_or_b32_e32 v21, v6, v0
.LBB4_527:                              ;   in Loop: Header=BB4_377 Depth=2
	s_or_b64 exec, exec, s[74:75]
                                        ; implicit-def: $vgpr0
.LBB4_528:                              ;   in Loop: Header=BB4_377 Depth=2
	s_andn2_saveexec_b64 s[16:17], s[72:73]
; %bb.529:                              ;   in Loop: Header=BB4_377 Depth=2
	v_or_b32_e32 v21, 0x7e, v0
; %bb.530:                              ;   in Loop: Header=BB4_377 Depth=2
	s_or_b64 exec, exec, s[16:17]
                                        ; implicit-def: $vgpr18
.LBB4_531:                              ;   in Loop: Header=BB4_377 Depth=2
	s_andn2_saveexec_b64 s[16:17], s[62:63]
; %bb.532:                              ;   in Loop: Header=BB4_377 Depth=2
	v_or_b32_sdwa v21, v18, s37 dst_sel:DWORD dst_unused:UNUSED_PAD src0_sel:BYTE_3 src1_sel:DWORD
; %bb.533:                              ;   in Loop: Header=BB4_377 Depth=2
	s_or_b64 exec, exec, s[16:17]
	v_lshrrev_b16_e32 v0, 8, v20
	v_cmp_ne_u16_e32 vcc, 0, v0
	v_mov_b32_e32 v18, 0
	v_mov_b32_e32 v19, 0
	s_and_saveexec_b64 s[16:17], vcc
	s_cbranch_execz .LBB4_539
; %bb.534:                              ;   in Loop: Header=BB4_377 Depth=2
	v_cmp_ne_u16_e32 vcc, s36, v0
	v_bfrev_b32_e32 v19, 1
	s_and_saveexec_b64 s[62:63], vcc
	s_cbranch_execz .LBB4_538
; %bb.535:                              ;   in Loop: Header=BB4_377 Depth=2
	v_and_b32_e32 v6, 0x7f, v0
	v_cmp_ne_u32_e32 vcc, s37, v6
	v_mov_b32_e32 v19, 0x7f800001
	s_and_saveexec_b64 s[72:73], vcc
	s_cbranch_execz .LBB4_537
; %bb.536:                              ;   in Loop: Header=BB4_377 Depth=2
	v_and_b32_e32 v19, 7, v0
	v_lshrrev_b32_e32 v33, 3, v6
	v_cmp_gt_u32_e32 vcc, 8, v6
	v_ffbh_u32_e32 v6, v19
	v_min_u32_e32 v6, 32, v6
	v_subrev_u32_e32 v30, 28, v6
	v_lshlrev_b64 v[30:31], v30, v[0:1]
	v_sub_u32_e32 v0, 29, v6
	v_and_b32_e32 v6, 7, v30
	v_cndmask_b32_e32 v0, v33, v0, vcc
	v_cndmask_b32_e32 v6, v19, v6, vcc
	v_lshlrev_b32_e32 v19, 16, v20
	v_lshlrev_b32_e32 v6, 20, v6
	v_and_b32_e32 v19, 0x80000000, v19
	v_lshl_add_u32 v0, v0, 23, v27
	v_or3_b32 v19, v19, v0, v6
.LBB4_537:                              ;   in Loop: Header=BB4_377 Depth=2
	s_or_b64 exec, exec, s[72:73]
.LBB4_538:                              ;   in Loop: Header=BB4_377 Depth=2
	s_or_b64 exec, exec, s[62:63]
.LBB4_539:                              ;   in Loop: Header=BB4_377 Depth=2
	s_or_b64 exec, exec, s[16:17]
	v_lshrrev_b16_e32 v0, 8, v42
	v_cmp_ne_u16_e32 vcc, 0, v0
	s_and_saveexec_b64 s[16:17], vcc
	s_cbranch_execz .LBB4_545
; %bb.540:                              ;   in Loop: Header=BB4_377 Depth=2
	v_cmp_ne_u16_e32 vcc, s36, v0
	v_bfrev_b32_e32 v18, 1
	s_and_saveexec_b64 s[62:63], vcc
	s_cbranch_execz .LBB4_544
; %bb.541:                              ;   in Loop: Header=BB4_377 Depth=2
	v_and_b32_e32 v6, 0x7f, v0
	v_cmp_ne_u32_e32 vcc, s37, v6
	v_mov_b32_e32 v18, 0x7f800001
	s_and_saveexec_b64 s[72:73], vcc
	s_cbranch_execz .LBB4_543
; %bb.542:                              ;   in Loop: Header=BB4_377 Depth=2
	v_and_b32_e32 v18, 7, v0
	v_lshrrev_b32_e32 v33, 3, v6
	v_cmp_gt_u32_e32 vcc, 8, v6
	v_ffbh_u32_e32 v6, v18
	v_min_u32_e32 v6, 32, v6
	v_subrev_u32_e32 v30, 28, v6
	v_lshlrev_b64 v[30:31], v30, v[0:1]
	v_sub_u32_e32 v0, 29, v6
	v_and_b32_e32 v6, 7, v30
	v_cndmask_b32_e32 v0, v33, v0, vcc
	v_cndmask_b32_e32 v6, v18, v6, vcc
	v_lshlrev_b32_e32 v18, 16, v42
	v_lshlrev_b32_e32 v6, 20, v6
	v_and_b32_e32 v18, 0x80000000, v18
	v_lshl_add_u32 v0, v0, 23, v27
	v_or3_b32 v18, v18, v0, v6
.LBB4_543:                              ;   in Loop: Header=BB4_377 Depth=2
	s_or_b64 exec, exec, s[72:73]
.LBB4_544:                              ;   in Loop: Header=BB4_377 Depth=2
	s_or_b64 exec, exec, s[62:63]
.LBB4_545:                              ;   in Loop: Header=BB4_377 Depth=2
	s_or_b64 exec, exec, s[16:17]
	v_mul_f32_e32 v18, v19, v18
	v_and_b32_e32 v30, 0x7f800000, v18
	v_mov_b32_e32 v31, v43
	v_cmp_ne_u64_e32 vcc, s[46:47], v[30:31]
                                        ; implicit-def: $vgpr33
	s_and_saveexec_b64 s[16:17], vcc
	s_xor_b64 s[62:63], exec, s[16:17]
	s_cbranch_execz .LBB4_559
; %bb.546:                              ;   in Loop: Header=BB4_377 Depth=2
	v_and_b32_e32 v30, 0x7fffffff, v18
	v_mov_b32_e32 v31, v43
	v_cmp_gt_u64_e32 vcc, s[56:57], v[30:31]
	v_and_b32_sdwa v0, v18, s36 dst_sel:DWORD dst_unused:UNUSED_PAD src0_sel:BYTE_3 src1_sel:DWORD
                                        ; implicit-def: $vgpr33
	s_and_saveexec_b64 s[16:17], vcc
	s_xor_b64 s[72:73], exec, s[16:17]
	s_cbranch_execz .LBB4_556
; %bb.547:                              ;   in Loop: Header=BB4_377 Depth=2
	v_mov_b32_e32 v33, 0
	v_cmp_ne_u32_e32 vcc, 0, v18
	s_and_saveexec_b64 s[74:75], vcc
	s_cbranch_execz .LBB4_555
; %bb.548:                              ;   in Loop: Header=BB4_377 Depth=2
	v_bfe_u32 v33, v18, 23, 8
	v_and_b32_e32 v6, 0x7fffff, v18
	v_cmp_gt_u32_e64 s[16:17], s38, v33
	v_sub_u32_e32 v18, 0x79, v33
	v_cmp_eq_u32_e32 vcc, 0, v33
	v_cndmask_b32_e64 v18, 0, v18, s[16:17]
	v_or_b32_e32 v19, 0x800000, v6
	v_cndmask_b32_e32 v34, v18, v5, vcc
	v_cndmask_b32_e32 v18, v19, v6, vcc
	v_add_u32_e32 v6, 20, v34
	v_lshlrev_b64 v[30:31], v6, -1
	v_mov_b32_e32 v19, v43
	v_add_u32_e32 v6, 19, v34
	v_bfi_b32 v30, v30, 0, v18
	v_lshlrev_b64 v[46:47], v6, 1
	v_lshrrev_b64 v[18:19], v34, v[18:19]
	v_bfi_b32 v31, v31, 0, 0
	v_cmp_eq_u64_e64 s[16:17], v[30:31], v[46:47]
	v_mov_b32_e32 v31, v19
	v_mov_b32_e32 v30, v18
	s_and_saveexec_b64 s[76:77], s[16:17]
; %bb.549:                              ;   in Loop: Header=BB4_377 Depth=2
	v_bfe_u32 v6, v18, 20, 1
	v_add_co_u32_e64 v6, s[16:17], v18, v6
	v_add_co_u32_e64 v30, s[16:17], -1, v6
; %bb.550:                              ;   in Loop: Header=BB4_377 Depth=2
	s_or_b64 exec, exec, s[76:77]
	v_add_u32_e32 v6, 0xffffff81, v33
	v_cndmask_b32_e32 v6, v6, v8, vcc
	v_lshrrev_b32_e32 v19, 23, v18
	v_add3_u32 v31, v34, v6, v19
	v_add_u32_e32 v6, 6, v31
	v_and_b32_e32 v19, 0xfffff, v30
	v_add_u32_e32 v18, v19, v18
	v_mov_b32_e32 v19, v43
	v_cmp_ne_u32_e32 vcc, 0, v6
                                        ; implicit-def: $vgpr30
	s_and_saveexec_b64 s[16:17], vcc
	s_xor_b64 s[16:17], exec, s[16:17]
; %bb.551:                              ;   in Loop: Header=BB4_377 Depth=2
	v_cmp_lt_u64_e32 vcc, s[58:59], v[18:19]
	v_add_u32_e32 v30, 7, v31
	v_cndmask_b32_e32 v30, v6, v30, vcc
	v_cndmask_b32_e64 v6, 0, 1, vcc
	v_lshrrev_b64 v[18:19], v6, v[18:19]
; %bb.552:                              ;   in Loop: Header=BB4_377 Depth=2
	s_andn2_saveexec_b64 s[16:17], s[16:17]
; %bb.553:                              ;   in Loop: Header=BB4_377 Depth=2
	v_bfe_u32 v30, v18, 23, 1
; %bb.554:                              ;   in Loop: Header=BB4_377 Depth=2
	s_or_b64 exec, exec, s[16:17]
	v_lshrrev_b64 v[18:19], 20, v[18:19]
	v_cmp_gt_i32_e32 vcc, 16, v30
	v_cndmask_b32_e32 v19, 0, v19, vcc
	v_cndmask_b32_e32 v18, 7, v18, vcc
	v_min_i32_e32 v6, 15, v30
	v_cmp_eq_u64_e64 s[16:17], 0, v[18:19]
	v_lshlrev_b32_e32 v6, 3, v6
	v_cmp_eq_u32_e32 vcc, 0, v30
	v_and_b32_e32 v6, 0xf8, v6
	v_and_or_b32 v6, v18, 7, v6
	s_and_b64 s[16:17], vcc, s[16:17]
	v_cndmask_b32_e64 v6, v6, 0, s[16:17]
	v_or_b32_e32 v33, v6, v0
.LBB4_555:                              ;   in Loop: Header=BB4_377 Depth=2
	s_or_b64 exec, exec, s[74:75]
                                        ; implicit-def: $vgpr0
.LBB4_556:                              ;   in Loop: Header=BB4_377 Depth=2
	s_andn2_saveexec_b64 s[16:17], s[72:73]
; %bb.557:                              ;   in Loop: Header=BB4_377 Depth=2
	v_or_b32_e32 v33, 0x7e, v0
; %bb.558:                              ;   in Loop: Header=BB4_377 Depth=2
	s_or_b64 exec, exec, s[16:17]
                                        ; implicit-def: $vgpr18
.LBB4_559:                              ;   in Loop: Header=BB4_377 Depth=2
	s_andn2_saveexec_b64 s[16:17], s[62:63]
; %bb.560:                              ;   in Loop: Header=BB4_377 Depth=2
	v_or_b32_sdwa v33, v18, s37 dst_sel:DWORD dst_unused:UNUSED_PAD src0_sel:BYTE_3 src1_sel:DWORD
; %bb.561:                              ;   in Loop: Header=BB4_377 Depth=2
	s_or_b64 exec, exec, s[16:17]
	v_lshrrev_b32_e32 v0, 16, v20
	v_cmp_ne_u16_sdwa s[62:63], v0, v43 src0_sel:BYTE_0 src1_sel:DWORD
	v_mov_b32_e32 v18, 0
	v_mov_b32_e32 v19, 0
	s_and_saveexec_b64 s[16:17], s[62:63]
	s_cbranch_execz .LBB4_567
; %bb.562:                              ;   in Loop: Header=BB4_377 Depth=2
	v_cmp_ne_u16_sdwa s[72:73], v0, s36 src0_sel:BYTE_0 src1_sel:DWORD
	v_bfrev_b32_e32 v19, 1
	s_and_saveexec_b64 s[62:63], s[72:73]
	s_cbranch_execz .LBB4_566
; %bb.563:                              ;   in Loop: Header=BB4_377 Depth=2
	v_bfe_u32 v6, v20, 16, 7
	v_cmp_ne_u32_e32 vcc, s37, v6
	v_mov_b32_e32 v19, 0x7f800001
	s_and_saveexec_b64 s[72:73], vcc
	s_cbranch_execz .LBB4_565
; %bb.564:                              ;   in Loop: Header=BB4_377 Depth=2
	v_and_b32_e32 v19, 7, v0
	v_lshrrev_b32_e32 v34, 3, v6
	v_cmp_gt_u32_e32 vcc, 8, v6
	v_ffbh_u32_e32 v6, v19
	v_min_u32_e32 v6, 32, v6
	v_subrev_u32_e32 v30, 28, v6
	v_lshlrev_b64 v[30:31], v30, v[0:1]
	v_sub_u32_e32 v6, 29, v6
	v_and_b32_e32 v30, 7, v30
	v_cndmask_b32_e32 v6, v34, v6, vcc
	v_cndmask_b32_e32 v19, v19, v30, vcc
	v_lshlrev_b32_e32 v0, 24, v0
	v_lshlrev_b32_e32 v19, 20, v19
	v_and_b32_e32 v0, 0x80000000, v0
	v_lshl_add_u32 v6, v6, 23, v27
	v_or3_b32 v19, v0, v6, v19
.LBB4_565:                              ;   in Loop: Header=BB4_377 Depth=2
	s_or_b64 exec, exec, s[72:73]
.LBB4_566:                              ;   in Loop: Header=BB4_377 Depth=2
	s_or_b64 exec, exec, s[62:63]
.LBB4_567:                              ;   in Loop: Header=BB4_377 Depth=2
	s_or_b64 exec, exec, s[16:17]
	v_and_b32_sdwa v6, v42, s35 dst_sel:DWORD dst_unused:UNUSED_PAD src0_sel:WORD_1 src1_sel:DWORD
	v_lshrrev_b32_e32 v0, 16, v42
	v_cmp_ne_u16_e32 vcc, 0, v6
	s_and_saveexec_b64 s[16:17], vcc
	s_cbranch_execz .LBB4_573
; %bb.568:                              ;   in Loop: Header=BB4_377 Depth=2
	v_cmp_ne_u16_e32 vcc, s36, v6
	v_bfrev_b32_e32 v18, 1
	s_and_saveexec_b64 s[62:63], vcc
	s_cbranch_execz .LBB4_572
; %bb.569:                              ;   in Loop: Header=BB4_377 Depth=2
	v_bfe_u32 v6, v42, 16, 7
	v_cmp_ne_u32_e32 vcc, s37, v6
	v_mov_b32_e32 v18, 0x7f800001
	s_and_saveexec_b64 s[72:73], vcc
	s_cbranch_execz .LBB4_571
; %bb.570:                              ;   in Loop: Header=BB4_377 Depth=2
	v_and_b32_e32 v18, 7, v0
	v_lshrrev_b32_e32 v34, 3, v6
	v_cmp_gt_u32_e32 vcc, 8, v6
	v_ffbh_u32_e32 v6, v18
	v_min_u32_e32 v6, 32, v6
	v_subrev_u32_e32 v30, 28, v6
	v_lshlrev_b64 v[30:31], v30, v[0:1]
	v_sub_u32_e32 v0, 29, v6
	v_and_b32_e32 v6, 7, v30
	v_cndmask_b32_e32 v0, v34, v0, vcc
	v_cndmask_b32_e32 v6, v18, v6, vcc
	v_lshlrev_b32_e32 v18, 8, v42
	v_lshlrev_b32_e32 v6, 20, v6
	v_and_b32_e32 v18, 0x80000000, v18
	v_lshl_add_u32 v0, v0, 23, v27
	v_or3_b32 v18, v18, v0, v6
.LBB4_571:                              ;   in Loop: Header=BB4_377 Depth=2
	s_or_b64 exec, exec, s[72:73]
.LBB4_572:                              ;   in Loop: Header=BB4_377 Depth=2
	s_or_b64 exec, exec, s[62:63]
.LBB4_573:                              ;   in Loop: Header=BB4_377 Depth=2
	s_or_b64 exec, exec, s[16:17]
	v_mul_f32_e32 v18, v19, v18
	v_and_b32_e32 v30, 0x7f800000, v18
	v_mov_b32_e32 v31, v43
	v_cmp_ne_u64_e32 vcc, s[46:47], v[30:31]
                                        ; implicit-def: $vgpr30
	s_and_saveexec_b64 s[16:17], vcc
	s_xor_b64 s[62:63], exec, s[16:17]
	s_cbranch_execz .LBB4_587
; %bb.574:                              ;   in Loop: Header=BB4_377 Depth=2
	v_and_b32_e32 v30, 0x7fffffff, v18
	v_mov_b32_e32 v31, v43
	v_cmp_gt_u64_e32 vcc, s[56:57], v[30:31]
	v_and_b32_sdwa v0, v18, s36 dst_sel:DWORD dst_unused:UNUSED_PAD src0_sel:BYTE_3 src1_sel:DWORD
                                        ; implicit-def: $vgpr30
	s_and_saveexec_b64 s[16:17], vcc
	s_xor_b64 s[72:73], exec, s[16:17]
	s_cbranch_execz .LBB4_584
; %bb.575:                              ;   in Loop: Header=BB4_377 Depth=2
	v_mov_b32_e32 v30, 0
	v_cmp_ne_u32_e32 vcc, 0, v18
	s_and_saveexec_b64 s[74:75], vcc
	s_cbranch_execz .LBB4_583
; %bb.576:                              ;   in Loop: Header=BB4_377 Depth=2
	v_bfe_u32 v34, v18, 23, 8
	v_and_b32_e32 v6, 0x7fffff, v18
	v_cmp_gt_u32_e64 s[16:17], s38, v34
	v_sub_u32_e32 v18, 0x79, v34
	v_cmp_eq_u32_e32 vcc, 0, v34
	v_cndmask_b32_e64 v18, 0, v18, s[16:17]
	v_or_b32_e32 v19, 0x800000, v6
	v_cndmask_b32_e32 v35, v18, v5, vcc
	v_cndmask_b32_e32 v18, v19, v6, vcc
	v_add_u32_e32 v6, 20, v35
	v_lshlrev_b64 v[30:31], v6, -1
	v_mov_b32_e32 v19, v43
	v_add_u32_e32 v6, 19, v35
	v_bfi_b32 v30, v30, 0, v18
	v_lshlrev_b64 v[46:47], v6, 1
	v_lshrrev_b64 v[18:19], v35, v[18:19]
	v_bfi_b32 v31, v31, 0, 0
	v_cmp_eq_u64_e64 s[16:17], v[30:31], v[46:47]
	v_mov_b32_e32 v31, v19
	v_mov_b32_e32 v30, v18
	s_and_saveexec_b64 s[76:77], s[16:17]
; %bb.577:                              ;   in Loop: Header=BB4_377 Depth=2
	v_bfe_u32 v6, v18, 20, 1
	v_add_co_u32_e64 v6, s[16:17], v18, v6
	v_add_co_u32_e64 v30, s[16:17], -1, v6
; %bb.578:                              ;   in Loop: Header=BB4_377 Depth=2
	s_or_b64 exec, exec, s[76:77]
	v_add_u32_e32 v6, 0xffffff81, v34
	v_cndmask_b32_e32 v6, v6, v8, vcc
	v_lshrrev_b32_e32 v19, 23, v18
	v_add3_u32 v31, v35, v6, v19
	v_add_u32_e32 v6, 6, v31
	v_and_b32_e32 v19, 0xfffff, v30
	v_add_u32_e32 v18, v19, v18
	v_mov_b32_e32 v19, v43
	v_cmp_ne_u32_e32 vcc, 0, v6
                                        ; implicit-def: $vgpr30
	s_and_saveexec_b64 s[16:17], vcc
	s_xor_b64 s[16:17], exec, s[16:17]
; %bb.579:                              ;   in Loop: Header=BB4_377 Depth=2
	v_cmp_lt_u64_e32 vcc, s[58:59], v[18:19]
	v_add_u32_e32 v30, 7, v31
	v_cndmask_b32_e32 v30, v6, v30, vcc
	v_cndmask_b32_e64 v6, 0, 1, vcc
	v_lshrrev_b64 v[18:19], v6, v[18:19]
; %bb.580:                              ;   in Loop: Header=BB4_377 Depth=2
	s_andn2_saveexec_b64 s[16:17], s[16:17]
; %bb.581:                              ;   in Loop: Header=BB4_377 Depth=2
	v_bfe_u32 v30, v18, 23, 1
; %bb.582:                              ;   in Loop: Header=BB4_377 Depth=2
	s_or_b64 exec, exec, s[16:17]
	v_lshrrev_b64 v[18:19], 20, v[18:19]
	v_cmp_gt_i32_e32 vcc, 16, v30
	v_cndmask_b32_e32 v19, 0, v19, vcc
	v_cndmask_b32_e32 v18, 7, v18, vcc
	v_min_i32_e32 v6, 15, v30
	v_cmp_eq_u64_e64 s[16:17], 0, v[18:19]
	v_lshlrev_b32_e32 v6, 3, v6
	v_cmp_eq_u32_e32 vcc, 0, v30
	v_and_b32_e32 v6, 0xf8, v6
	v_and_or_b32 v6, v18, 7, v6
	s_and_b64 s[16:17], vcc, s[16:17]
	v_cndmask_b32_e64 v6, v6, 0, s[16:17]
	v_or_b32_e32 v30, v6, v0
.LBB4_583:                              ;   in Loop: Header=BB4_377 Depth=2
	s_or_b64 exec, exec, s[74:75]
                                        ; implicit-def: $vgpr0
.LBB4_584:                              ;   in Loop: Header=BB4_377 Depth=2
	s_andn2_saveexec_b64 s[16:17], s[72:73]
; %bb.585:                              ;   in Loop: Header=BB4_377 Depth=2
	v_or_b32_e32 v30, 0x7e, v0
; %bb.586:                              ;   in Loop: Header=BB4_377 Depth=2
	s_or_b64 exec, exec, s[16:17]
                                        ; implicit-def: $vgpr18
.LBB4_587:                              ;   in Loop: Header=BB4_377 Depth=2
	s_andn2_saveexec_b64 s[16:17], s[62:63]
; %bb.588:                              ;   in Loop: Header=BB4_377 Depth=2
	v_or_b32_sdwa v30, v18, s37 dst_sel:DWORD dst_unused:UNUSED_PAD src0_sel:BYTE_3 src1_sel:DWORD
; %bb.589:                              ;   in Loop: Header=BB4_377 Depth=2
	s_or_b64 exec, exec, s[16:17]
	v_and_b32_e32 v18, 0xff000000, v20
	v_mov_b32_e32 v19, v43
	v_cmp_ne_u64_e32 vcc, 0, v[18:19]
	v_mov_b32_e32 v18, 0
	v_mov_b32_e32 v19, 0
	s_and_saveexec_b64 s[16:17], vcc
	s_cbranch_execz .LBB4_595
; %bb.590:                              ;   in Loop: Header=BB4_377 Depth=2
	v_lshrrev_b32_e32 v0, 24, v20
	v_cmp_ne_u32_e32 vcc, s36, v0
	v_bfrev_b32_e32 v19, 1
	s_and_saveexec_b64 s[62:63], vcc
	s_cbranch_execz .LBB4_594
; %bb.591:                              ;   in Loop: Header=BB4_377 Depth=2
	v_bfe_u32 v6, v20, 24, 7
	v_cmp_ne_u32_e32 vcc, s37, v6
	v_mov_b32_e32 v19, 0x7f800001
	s_and_saveexec_b64 s[72:73], vcc
	s_cbranch_execz .LBB4_593
; %bb.592:                              ;   in Loop: Header=BB4_377 Depth=2
	v_and_b32_e32 v31, 7, v0
	v_lshrrev_b32_e32 v34, 3, v6
	v_cmp_gt_u32_e32 vcc, 8, v6
	v_ffbh_u32_e32 v6, v31
	v_min_u32_e32 v6, 32, v6
	v_subrev_u32_e32 v19, 28, v6
	v_lshlrev_b64 v[19:20], v19, v[0:1]
	v_sub_u32_e32 v6, 29, v6
	v_and_b32_e32 v19, 7, v19
	v_cndmask_b32_e32 v6, v34, v6, vcc
	v_cndmask_b32_e32 v19, v31, v19, vcc
	v_lshlrev_b32_e32 v0, 24, v0
	v_lshlrev_b32_e32 v19, 20, v19
	v_and_b32_e32 v0, 0x80000000, v0
	v_lshl_add_u32 v6, v6, 23, v27
	v_or3_b32 v19, v0, v6, v19
.LBB4_593:                              ;   in Loop: Header=BB4_377 Depth=2
	s_or_b64 exec, exec, s[72:73]
.LBB4_594:                              ;   in Loop: Header=BB4_377 Depth=2
	s_or_b64 exec, exec, s[62:63]
.LBB4_595:                              ;   in Loop: Header=BB4_377 Depth=2
	s_or_b64 exec, exec, s[16:17]
	v_cmp_lt_u32_e32 vcc, s39, v42
	s_and_saveexec_b64 s[16:17], vcc
	s_cbranch_execz .LBB4_601
; %bb.596:                              ;   in Loop: Header=BB4_377 Depth=2
	v_lshrrev_b32_e32 v0, 24, v42
	v_cmp_ne_u32_sdwa s[72:73], v42, s36 src0_sel:BYTE_3 src1_sel:DWORD
	v_bfrev_b32_e32 v18, 1
	s_and_saveexec_b64 s[62:63], s[72:73]
	s_cbranch_execz .LBB4_600
; %bb.597:                              ;   in Loop: Header=BB4_377 Depth=2
	v_bfe_u32 v6, v42, 24, 7
	v_cmp_ne_u32_e32 vcc, s37, v6
	v_mov_b32_e32 v18, 0x7f800001
	s_and_saveexec_b64 s[72:73], vcc
	s_cbranch_execz .LBB4_599
; %bb.598:                              ;   in Loop: Header=BB4_377 Depth=2
	v_and_b32_e32 v18, 7, v0
	v_lshrrev_b32_e32 v20, 3, v6
	v_cmp_gt_u32_e32 vcc, 8, v6
	v_ffbh_u32_e32 v6, v18
	v_min_u32_e32 v6, 32, v6
	v_subrev_u32_e32 v31, 28, v6
	v_lshlrev_b64 v[34:35], v31, v[0:1]
	v_sub_u32_e32 v0, 29, v6
	v_and_b32_e32 v6, 7, v34
	v_cndmask_b32_e32 v0, v20, v0, vcc
	v_cndmask_b32_e32 v6, v18, v6, vcc
	v_lshlrev_b32_sdwa v18, v9, v42 dst_sel:DWORD dst_unused:UNUSED_PAD src0_sel:DWORD src1_sel:BYTE_3
	v_lshlrev_b32_e32 v6, 20, v6
	v_and_b32_e32 v18, 0x80000000, v18
	v_lshl_add_u32 v0, v0, 23, v27
	v_or3_b32 v18, v18, v0, v6
.LBB4_599:                              ;   in Loop: Header=BB4_377 Depth=2
	s_or_b64 exec, exec, s[72:73]
.LBB4_600:                              ;   in Loop: Header=BB4_377 Depth=2
	s_or_b64 exec, exec, s[62:63]
.LBB4_601:                              ;   in Loop: Header=BB4_377 Depth=2
	s_or_b64 exec, exec, s[16:17]
	v_mul_f32_e32 v18, v19, v18
	v_and_b32_e32 v42, 0x7f800000, v18
	v_cmp_ne_u64_e32 vcc, s[46:47], v[42:43]
                                        ; implicit-def: $vgpr19
	s_and_saveexec_b64 s[16:17], vcc
	s_xor_b64 s[62:63], exec, s[16:17]
	s_cbranch_execz .LBB4_615
; %bb.602:                              ;   in Loop: Header=BB4_377 Depth=2
	v_and_b32_e32 v42, 0x7fffffff, v18
	v_cmp_gt_u64_e32 vcc, s[56:57], v[42:43]
	v_and_b32_sdwa v0, v18, s36 dst_sel:DWORD dst_unused:UNUSED_PAD src0_sel:BYTE_3 src1_sel:DWORD
                                        ; implicit-def: $vgpr19
	s_and_saveexec_b64 s[16:17], vcc
	s_xor_b64 s[72:73], exec, s[16:17]
	s_cbranch_execz .LBB4_612
; %bb.603:                              ;   in Loop: Header=BB4_377 Depth=2
	v_mov_b32_e32 v19, 0
	v_cmp_ne_u32_e32 vcc, 0, v18
	s_and_saveexec_b64 s[74:75], vcc
	s_cbranch_execz .LBB4_611
; %bb.604:                              ;   in Loop: Header=BB4_377 Depth=2
	v_bfe_u32 v31, v18, 23, 8
	v_and_b32_e32 v6, 0x7fffff, v18
	v_cmp_gt_u32_e64 s[16:17], s38, v31
	v_sub_u32_e32 v18, 0x79, v31
	v_cmp_eq_u32_e32 vcc, 0, v31
	v_cndmask_b32_e64 v18, 0, v18, s[16:17]
	v_or_b32_e32 v19, 0x800000, v6
	v_cndmask_b32_e32 v34, v18, v5, vcc
	v_cndmask_b32_e32 v42, v19, v6, vcc
	v_add_u32_e32 v6, 20, v34
	v_lshlrev_b64 v[18:19], v6, -1
	v_add_u32_e32 v6, 19, v34
	v_lshlrev_b64 v[46:47], v6, 1
	v_bfi_b32 v19, v19, 0, 0
	v_bfi_b32 v18, v18, 0, v42
	v_cmp_eq_u64_e64 s[16:17], v[18:19], v[46:47]
	v_lshrrev_b64 v[18:19], v34, v[42:43]
	v_mov_b32_e32 v20, v19
	v_mov_b32_e32 v19, v18
	s_and_saveexec_b64 s[76:77], s[16:17]
; %bb.605:                              ;   in Loop: Header=BB4_377 Depth=2
	v_bfe_u32 v6, v18, 20, 1
	v_add_co_u32_e64 v6, s[16:17], v18, v6
	v_add_co_u32_e64 v19, s[16:17], -1, v6
; %bb.606:                              ;   in Loop: Header=BB4_377 Depth=2
	s_or_b64 exec, exec, s[76:77]
	v_add_u32_e32 v6, 0xffffff81, v31
	v_cndmask_b32_e32 v6, v6, v8, vcc
	v_lshrrev_b32_e32 v20, 23, v18
	v_add3_u32 v31, v34, v6, v20
	v_add_u32_e32 v6, 6, v31
	v_and_b32_e32 v19, 0xfffff, v19
	v_add_u32_e32 v42, v19, v18
	v_cmp_ne_u32_e32 vcc, 0, v6
                                        ; implicit-def: $vgpr18_vgpr19
                                        ; implicit-def: $vgpr20
	s_and_saveexec_b64 s[16:17], vcc
	s_xor_b64 s[16:17], exec, s[16:17]
; %bb.607:                              ;   in Loop: Header=BB4_377 Depth=2
	v_cmp_lt_u64_e32 vcc, s[58:59], v[42:43]
	v_add_u32_e32 v18, 7, v31
	v_cndmask_b32_e32 v20, v6, v18, vcc
	v_cndmask_b32_e64 v6, 0, 1, vcc
	v_lshrrev_b64 v[18:19], v6, v[42:43]
; %bb.608:                              ;   in Loop: Header=BB4_377 Depth=2
	s_andn2_saveexec_b64 s[16:17], s[16:17]
; %bb.609:                              ;   in Loop: Header=BB4_377 Depth=2
	v_mov_b32_e32 v18, v42
	v_bfe_u32 v20, v42, 23, 1
	v_mov_b32_e32 v19, v43
; %bb.610:                              ;   in Loop: Header=BB4_377 Depth=2
	s_or_b64 exec, exec, s[16:17]
	v_lshrrev_b64 v[18:19], 20, v[18:19]
	v_cmp_gt_i32_e32 vcc, 16, v20
	v_cndmask_b32_e32 v19, 0, v19, vcc
	v_cndmask_b32_e32 v18, 7, v18, vcc
	v_min_i32_e32 v6, 15, v20
	v_cmp_eq_u64_e64 s[16:17], 0, v[18:19]
	v_lshlrev_b32_e32 v6, 3, v6
	v_cmp_eq_u32_e32 vcc, 0, v20
	v_and_b32_e32 v6, 0xf8, v6
	v_and_or_b32 v6, v18, 7, v6
	s_and_b64 s[16:17], vcc, s[16:17]
	v_cndmask_b32_e64 v6, v6, 0, s[16:17]
	v_or_b32_e32 v19, v6, v0
.LBB4_611:                              ;   in Loop: Header=BB4_377 Depth=2
	s_or_b64 exec, exec, s[74:75]
                                        ; implicit-def: $vgpr0
.LBB4_612:                              ;   in Loop: Header=BB4_377 Depth=2
	s_andn2_saveexec_b64 s[16:17], s[72:73]
; %bb.613:                              ;   in Loop: Header=BB4_377 Depth=2
	v_or_b32_e32 v19, 0x7e, v0
; %bb.614:                              ;   in Loop: Header=BB4_377 Depth=2
	s_or_b64 exec, exec, s[16:17]
                                        ; implicit-def: $vgpr18
.LBB4_615:                              ;   in Loop: Header=BB4_377 Depth=2
	s_andn2_saveexec_b64 s[16:17], s[62:63]
; %bb.616:                              ;   in Loop: Header=BB4_377 Depth=2
	v_or_b32_sdwa v19, v18, s37 dst_sel:DWORD dst_unused:UNUSED_PAD src0_sel:BYTE_3 src1_sel:DWORD
; %bb.617:                              ;   in Loop: Header=BB4_377 Depth=2
	s_or_b64 exec, exec, s[16:17]
	v_lshlrev_b32_e32 v0, 16, v11
	v_lshlrev_b32_e32 v6, 24, v32
	v_lshl_or_b32 v0, v10, 8, v0
	v_or3_b32 v18, v0, v6, v7
	v_lshlrev_b32_e32 v6, 16, v30
	v_lshlrev_b32_e32 v0, 24, v19
	v_lshl_or_b32 v6, v33, 8, v6
	v_cmp_lt_u32_e32 vcc, 7, v26
	v_or3_b32 v19, v6, v0, v21
	s_cmp_lg_u64 vcc, exec
	s_mov_b64 s[16:17], -1
	s_cbranch_scc0 .LBB4_627
; %bb.618:                              ;   in Loop: Header=BB4_377 Depth=2
	v_cmp_ne_u32_e64 s[16:17], 1, v26
	flat_store_byte v[56:57], v7
	s_and_saveexec_b64 s[62:63], s[16:17]
	s_cbranch_execz .LBB4_629
; %bb.619:                              ;   in Loop: Header=BB4_377 Depth=2
	v_lshrrev_b32_e32 v0, 8, v18
	flat_store_byte v[56:57], v0 offset:1
	s_or_b64 exec, exec, s[62:63]
	v_cmp_lt_u32_e64 s[16:17], 2, v26
	s_and_saveexec_b64 s[62:63], s[16:17]
	s_cbranch_execnz .LBB4_630
.LBB4_620:                              ;   in Loop: Header=BB4_377 Depth=2
	s_or_b64 exec, exec, s[62:63]
	v_cmp_lt_u32_e64 s[16:17], 3, v26
	s_and_saveexec_b64 s[62:63], s[16:17]
	s_cbranch_execz .LBB4_631
.LBB4_621:                              ;   in Loop: Header=BB4_377 Depth=2
	v_lshrrev_b32_e32 v0, 24, v18
	flat_store_byte v[56:57], v0 offset:3
	s_or_b64 exec, exec, s[62:63]
	v_cmp_lt_u32_e64 s[16:17], 4, v26
	s_and_saveexec_b64 s[62:63], s[16:17]
	s_cbranch_execnz .LBB4_632
.LBB4_622:                              ;   in Loop: Header=BB4_377 Depth=2
	s_or_b64 exec, exec, s[62:63]
	v_cmp_lt_u32_e64 s[16:17], 5, v26
	s_and_saveexec_b64 s[62:63], s[16:17]
	s_cbranch_execz .LBB4_633
.LBB4_623:                              ;   in Loop: Header=BB4_377 Depth=2
	v_lshrrev_b32_e32 v0, 8, v19
	flat_store_byte v[56:57], v0 offset:5
	s_or_b64 exec, exec, s[62:63]
	v_cmp_lt_u32_e64 s[16:17], 6, v26
	s_and_saveexec_b64 s[62:63], s[16:17]
	s_cbranch_execnz .LBB4_634
.LBB4_624:                              ;   in Loop: Header=BB4_377 Depth=2
	s_or_b64 exec, exec, s[62:63]
	s_and_saveexec_b64 s[16:17], vcc
	s_cbranch_execz .LBB4_626
.LBB4_625:                              ;   in Loop: Header=BB4_377 Depth=2
	v_lshrrev_b32_e32 v0, 24, v19
	flat_store_byte v[56:57], v0 offset:7
.LBB4_626:                              ;   in Loop: Header=BB4_377 Depth=2
	s_or_b64 exec, exec, s[16:17]
	s_mov_b64 s[16:17], 0
.LBB4_627:                              ;   in Loop: Header=BB4_377 Depth=2
	s_and_b64 vcc, exec, s[16:17]
	s_cbranch_vccz .LBB4_376
; %bb.628:                              ;   in Loop: Header=BB4_377 Depth=2
	global_store_dwordx2 v[56:57], v[18:19], off
	s_branch .LBB4_376
.LBB4_629:                              ;   in Loop: Header=BB4_377 Depth=2
	s_or_b64 exec, exec, s[62:63]
	v_cmp_lt_u32_e64 s[16:17], 2, v26
	s_and_saveexec_b64 s[62:63], s[16:17]
	s_cbranch_execz .LBB4_620
.LBB4_630:                              ;   in Loop: Header=BB4_377 Depth=2
	flat_store_byte_d16_hi v[56:57], v18 offset:2
	s_or_b64 exec, exec, s[62:63]
	v_cmp_lt_u32_e64 s[16:17], 3, v26
	s_and_saveexec_b64 s[62:63], s[16:17]
	s_cbranch_execnz .LBB4_621
.LBB4_631:                              ;   in Loop: Header=BB4_377 Depth=2
	s_or_b64 exec, exec, s[62:63]
	v_cmp_lt_u32_e64 s[16:17], 4, v26
	s_and_saveexec_b64 s[62:63], s[16:17]
	s_cbranch_execz .LBB4_622
.LBB4_632:                              ;   in Loop: Header=BB4_377 Depth=2
	flat_store_byte v[56:57], v21 offset:4
	s_or_b64 exec, exec, s[62:63]
	v_cmp_lt_u32_e64 s[16:17], 5, v26
	s_and_saveexec_b64 s[62:63], s[16:17]
	s_cbranch_execnz .LBB4_623
.LBB4_633:                              ;   in Loop: Header=BB4_377 Depth=2
	s_or_b64 exec, exec, s[62:63]
	v_cmp_lt_u32_e64 s[16:17], 6, v26
	s_and_saveexec_b64 s[62:63], s[16:17]
	s_cbranch_execz .LBB4_624
.LBB4_634:                              ;   in Loop: Header=BB4_377 Depth=2
	flat_store_byte_d16_hi v[56:57], v19 offset:6
	s_or_b64 exec, exec, s[62:63]
	s_and_saveexec_b64 s[16:17], vcc
	s_cbranch_execnz .LBB4_625
	s_branch .LBB4_626
.LBB4_635:                              ;   in Loop: Header=BB4_21 Depth=1
	s_or_b64 exec, exec, s[60:61]
	buffer_load_dword v34, off, s[0:3], s32 offset:156 ; 4-byte Folded Reload
	buffer_load_dword v50, off, s[0:3], s32 offset:100 ; 4-byte Folded Reload
	;; [unrolled: 1-line block ×3, first 2 shown]
.LBB4_636:                              ;   in Loop: Header=BB4_21 Depth=1
	s_or_b64 exec, exec, s[18:19]
	buffer_load_dword v18, off, s[0:3], s32 offset:116 ; 4-byte Folded Reload
	buffer_load_dword v19, off, s[0:3], s32 offset:120 ; 4-byte Folded Reload
	;; [unrolled: 1-line block ×6, first 2 shown]
	s_waitcnt vmcnt(0)
	v_mov_b32_e32 v10, v20
	v_mov_b32_e32 v11, v21
	s_and_saveexec_b64 s[16:17], s[10:11]
	s_cbranch_execz .LBB4_655
; %bb.637:                              ;   in Loop: Header=BB4_21 Depth=1
	s_and_saveexec_b64 s[18:19], s[40:41]
	s_xor_b64 s[18:19], exec, s[18:19]
	s_cbranch_execz .LBB4_652
; %bb.638:                              ;   in Loop: Header=BB4_21 Depth=1
	s_and_saveexec_b64 s[60:61], s[12:13]
	s_cbranch_execz .LBB4_651
; %bb.639:                              ;   in Loop: Header=BB4_21 Depth=1
	s_mov_b64 s[72:73], exec
	s_waitcnt lgkmcnt(0)
	v_mbcnt_lo_u32_b32 v0, s72, 0
	v_mbcnt_hi_u32_b32 v0, s73, v0
	v_cmp_eq_u32_e32 vcc, 0, v0
	buffer_wbinvl1_vol
	s_and_saveexec_b64 s[62:63], vcc
	s_cbranch_execz .LBB4_641
; %bb.640:                              ;   in Loop: Header=BB4_21 Depth=1
	s_bcnt1_i32_b64 s26, s[72:73]
	v_mov_b32_e32 v42, s26
	ds_add_u64 v0, v[42:43]
	s_trap 2
.LBB4_641:                              ;   in Loop: Header=BB4_21 Depth=1
	s_or_b64 exec, exec, s[62:63]
	s_trap 2
	ds_read_b64 v[6:7], v0
	s_waitcnt lgkmcnt(0)
	buffer_load_dword v0, off, s[0:3], s32 offset:96 ; 4-byte Folded Reload
	s_waitcnt vmcnt(0)
	v_add_co_u32_e32 v2, vcc, v2, v0
	v_addc_co_u32_e32 v3, vcc, 0, v3, vcc
	v_cmp_lt_u64_e32 vcc, v[6:7], v[2:3]
	s_and_saveexec_b64 s[62:63], vcc
	s_cbranch_execz .LBB4_650
; %bb.642:                              ;   in Loop: Header=BB4_21 Depth=1
	s_mov_b32 s26, 0
	s_mov_b64 s[72:73], 0
                                        ; implicit-def: $sgpr74_sgpr75
                                        ; implicit-def: $sgpr76_sgpr77
	s_branch .LBB4_644
.LBB4_643:                              ;   in Loop: Header=BB4_644 Depth=2
	s_or_b64 exec, exec, s[88:89]
	s_and_b64 s[78:79], exec, s[90:91]
	s_or_b64 s[72:73], s[78:79], s[72:73]
	s_andn2_b64 s[74:75], s[74:75], exec
	s_and_b64 s[78:79], s[76:77], exec
	s_or_b64 s[74:75], s[74:75], s[78:79]
	s_andn2_b64 exec, exec, s[72:73]
	s_cbranch_execz .LBB4_648
.LBB4_644:                              ;   Parent Loop BB4_21 Depth=1
                                        ; =>  This Inner Loop Header: Depth=2
	s_add_i32 s26, s26, 1
	s_cmpk_lg_i32 s26, 0x2710
	s_cselect_b64 s[78:79], -1, 0
	s_and_b64 vcc, exec, s[78:79]
	s_cbranch_vccz .LBB4_646
; %bb.645:                              ;   in Loop: Header=BB4_644 Depth=2
	s_mov_b64 s[90:91], -1
	s_or_b64 s[76:77], s[76:77], exec
	s_and_saveexec_b64 s[88:89], s[78:79]
	s_cbranch_execz .LBB4_643
	s_branch .LBB4_647
.LBB4_646:                              ;   in Loop: Header=BB4_644 Depth=2
	s_trap 2
	ds_read_b64 v[6:7], v0
	s_andn2_b64 s[78:79], s[78:79], exec
	s_mov_b32 s26, 0
	s_waitcnt lgkmcnt(0)
	flat_load_dword v0, v[6:7] glc
	s_waitcnt vmcnt(0) lgkmcnt(0)
	buffer_wbinvl1_vol
	v_cmp_eq_u32_e32 vcc, 0, v0
	s_and_b64 s[88:89], vcc, exec
	s_or_b64 s[78:79], s[78:79], s[88:89]
	s_mov_b64 s[90:91], -1
	s_or_b64 s[76:77], s[76:77], exec
	s_and_saveexec_b64 s[88:89], s[78:79]
	s_cbranch_execz .LBB4_643
.LBB4_647:                              ;   in Loop: Header=BB4_644 Depth=2
	s_sleep 1
	s_trap 2
	ds_read_b64 v[6:7], v0
	s_waitcnt lgkmcnt(0)
	s_andn2_b64 s[76:77], s[76:77], exec
	v_cmp_ge_u64_e32 vcc, v[6:7], v[2:3]
	s_orn2_b64 s[90:91], vcc, exec
	s_branch .LBB4_643
.LBB4_648:                              ;   in Loop: Header=BB4_21 Depth=1
	s_or_b64 exec, exec, s[72:73]
	s_and_saveexec_b64 s[72:73], s[74:75]
	s_xor_b64 s[72:73], exec, s[72:73]
	s_cbranch_execz .LBB4_650
; %bb.649:                              ;   in Loop: Header=BB4_21 Depth=1
	v_mov_b32_e32 v0, 1
	ds_write_b32 v0, v0
	s_trap 2
.LBB4_650:                              ;   in Loop: Header=BB4_21 Depth=1
	s_or_b64 exec, exec, s[62:63]
	;;#ASMSTART
	s_wakeup
	;;#ASMEND
.LBB4_651:                              ;   in Loop: Header=BB4_21 Depth=1
	s_or_b64 exec, exec, s[60:61]
.LBB4_652:                              ;   in Loop: Header=BB4_21 Depth=1
	s_andn2_saveexec_b64 s[18:19], s[18:19]
	s_cbranch_execz .LBB4_654
; %bb.653:                              ;   in Loop: Header=BB4_21 Depth=1
	s_waitcnt lgkmcnt(0)
	buffer_wbinvl1_vol
	s_barrier
.LBB4_654:                              ;   in Loop: Header=BB4_21 Depth=1
	s_or_b64 exec, exec, s[18:19]
.LBB4_655:                              ;   in Loop: Header=BB4_21 Depth=1
	s_or_b64 exec, exec, s[16:17]
	s_and_saveexec_b64 s[16:17], s[14:15]
	s_cbranch_execz .LBB4_20
; %bb.656:                              ;   in Loop: Header=BB4_21 Depth=1
	buffer_load_dword v6, off, s[0:3], s32 offset:68 ; 4-byte Folded Reload
	buffer_load_dword v7, off, s[0:3], s32 offset:72 ; 4-byte Folded Reload
	v_add_co_u32_e32 v48, vcc, 1, v48
	v_addc_co_u32_e32 v49, vcc, 0, v49, vcc
	s_waitcnt vmcnt(0)
	flat_store_dwordx2 v[6:7], v[48:49]
	s_branch .LBB4_20
.LBB4_657:
	s_or_b64 exec, exec, s[28:29]
	buffer_load_dword v31, off, s[0:3], s32 offset:212 ; 4-byte Folded Reload
	buffer_load_dword v12, off, s[0:3], s32 offset:216 ; 4-byte Folded Reload
	buffer_load_dword v26, off, s[0:3], s32 offset:220 ; 4-byte Folded Reload
	buffer_load_dword v27, off, s[0:3], s32 offset:224 ; 4-byte Folded Reload
	buffer_load_dword v28, off, s[0:3], s32 offset:228 ; 4-byte Folded Reload
	buffer_load_dword v29, off, s[0:3], s32 offset:232 ; 4-byte Folded Reload
.LBB4_658:
	s_or_b64 exec, exec, s[24:25]
	s_and_saveexec_b64 s[6:7], s[22:23]
	s_cbranch_execz .LBB4_661
; %bb.659:
	s_waitcnt vmcnt(0) lgkmcnt(0)
	flat_store_dwordx2 v[28:29], v[48:49] offset:104
	s_or_b64 exec, exec, s[6:7]
	s_and_saveexec_b64 s[6:7], s[4:5]
	s_cbranch_execnz .LBB4_662
.LBB4_660:
	s_or_b64 exec, exec, s[6:7]
	v_cmp_ne_u32_e32 vcc, 64, v1
	s_and_saveexec_b64 s[4:5], vcc
	s_cbranch_execnz .LBB4_663
	s_branch .LBB4_680
.LBB4_661:
	s_or_b64 exec, exec, s[6:7]
	s_and_saveexec_b64 s[6:7], s[4:5]
	s_cbranch_execz .LBB4_660
.LBB4_662:
	s_waitcnt vmcnt(0) lgkmcnt(0)
	flat_store_dwordx2 v[26:27], v[16:17] offset:104
	s_or_b64 exec, exec, s[6:7]
	v_cmp_ne_u32_e32 vcc, 64, v1
	s_and_saveexec_b64 s[4:5], vcc
	s_cbranch_execz .LBB4_680
.LBB4_663:
	s_waitcnt vmcnt(0)
	v_cmp_ne_u32_sdwa s[6:7], v1, v12 src0_sel:DWORD src1_sel:WORD_0
	s_and_saveexec_b64 s[8:9], s[6:7]
	s_xor_b64 s[6:7], exec, s[8:9]
	s_cbranch_execz .LBB4_678
; %bb.664:
	s_waitcnt lgkmcnt(0)
	v_and_b32_e32 v0, 63, v31
	v_cmp_eq_u32_e32 vcc, 0, v0
	s_and_saveexec_b64 s[8:9], vcc
	s_cbranch_execz .LBB4_677
; %bb.665:
	s_mov_b64 s[12:13], exec
	v_mbcnt_lo_u32_b32 v0, s12, 0
	v_mbcnt_hi_u32_b32 v0, s13, v0
	v_cmp_eq_u32_e32 vcc, 0, v0
	buffer_wbinvl1_vol
	s_and_saveexec_b64 s[10:11], vcc
	s_cbranch_execz .LBB4_667
; %bb.666:
	s_bcnt1_i32_b64 s12, s[12:13]
	v_mov_b32_e32 v4, s12
	v_mov_b32_e32 v5, 0
	ds_add_u64 v0, v[4:5]
	s_trap 2
.LBB4_667:
	s_or_b64 exec, exec, s[10:11]
	v_lshrrev_b32_e32 v0, 6, v1
	s_trap 2
	ds_read_b64 v[4:5], v0
	s_waitcnt lgkmcnt(0)
	v_add_co_u32_e32 v0, vcc, v2, v0
	v_addc_co_u32_e32 v1, vcc, 0, v3, vcc
	v_cmp_lt_u64_e32 vcc, v[4:5], v[0:1]
	s_and_saveexec_b64 s[10:11], vcc
	s_cbranch_execz .LBB4_676
; %bb.668:
	s_mov_b32 s24, 0
	s_mov_b64 s[12:13], 0
                                        ; implicit-def: $sgpr14_sgpr15
                                        ; implicit-def: $sgpr16_sgpr17
	s_branch .LBB4_670
.LBB4_669:                              ;   in Loop: Header=BB4_670 Depth=1
	s_or_b64 exec, exec, s[20:21]
	s_and_b64 s[18:19], exec, s[22:23]
	s_or_b64 s[12:13], s[18:19], s[12:13]
	s_andn2_b64 s[14:15], s[14:15], exec
	s_and_b64 s[18:19], s[16:17], exec
	s_or_b64 s[14:15], s[14:15], s[18:19]
	s_andn2_b64 exec, exec, s[12:13]
	s_cbranch_execz .LBB4_674
.LBB4_670:                              ; =>This Inner Loop Header: Depth=1
	s_add_i32 s24, s24, 1
	s_cmpk_lg_i32 s24, 0x2710
	s_cselect_b64 s[18:19], -1, 0
	s_and_b64 vcc, exec, s[18:19]
	s_cbranch_vccz .LBB4_672
; %bb.671:                              ;   in Loop: Header=BB4_670 Depth=1
	s_mov_b64 s[22:23], -1
	s_or_b64 s[16:17], s[16:17], exec
	s_and_saveexec_b64 s[20:21], s[18:19]
	s_cbranch_execz .LBB4_669
	s_branch .LBB4_673
.LBB4_672:                              ;   in Loop: Header=BB4_670 Depth=1
	s_trap 2
	ds_read_b64 v[2:3], v0
	s_andn2_b64 s[18:19], s[18:19], exec
	s_mov_b32 s24, 0
	s_waitcnt lgkmcnt(0)
	flat_load_dword v2, v[2:3] glc
	s_waitcnt vmcnt(0) lgkmcnt(0)
	buffer_wbinvl1_vol
	v_cmp_eq_u32_e32 vcc, 0, v2
	s_and_b64 s[20:21], vcc, exec
	s_or_b64 s[18:19], s[18:19], s[20:21]
	s_mov_b64 s[22:23], -1
	s_or_b64 s[16:17], s[16:17], exec
	s_and_saveexec_b64 s[20:21], s[18:19]
	s_cbranch_execz .LBB4_669
.LBB4_673:                              ;   in Loop: Header=BB4_670 Depth=1
	s_sleep 1
	s_trap 2
	ds_read_b64 v[2:3], v0
	s_waitcnt lgkmcnt(0)
	s_andn2_b64 s[16:17], s[16:17], exec
	v_cmp_ge_u64_e32 vcc, v[2:3], v[0:1]
	s_orn2_b64 s[22:23], vcc, exec
	s_branch .LBB4_669
.LBB4_674:
	s_or_b64 exec, exec, s[12:13]
	s_and_saveexec_b64 s[12:13], s[14:15]
	s_xor_b64 s[12:13], exec, s[12:13]
	s_cbranch_execz .LBB4_676
; %bb.675:
	v_mov_b32_e32 v0, 1
	ds_write_b32 v0, v0
	s_trap 2
.LBB4_676:
	s_or_b64 exec, exec, s[10:11]
	;;#ASMSTART
	s_wakeup
	;;#ASMEND
.LBB4_677:
	s_or_b64 exec, exec, s[8:9]
.LBB4_678:
	s_andn2_saveexec_b64 s[6:7], s[6:7]
	s_cbranch_execz .LBB4_680
; %bb.679:
	s_waitcnt lgkmcnt(0)
	buffer_wbinvl1_vol
	s_barrier
.LBB4_680:
	s_or_b64 exec, exec, s[4:5]
	buffer_load_dword v62, off, s[0:3], s32 ; 4-byte Folded Reload
	buffer_load_dword v61, off, s[0:3], s32 offset:4 ; 4-byte Folded Reload
	buffer_load_dword v60, off, s[0:3], s32 offset:8 ; 4-byte Folded Reload
	;; [unrolled: 1-line block ×14, first 2 shown]
	v_readlane_b32 s30, v63, 7
	v_readlane_b32 s31, v63, 8
	;; [unrolled: 1-line block ×9, first 2 shown]
	s_or_saveexec_b64 s[4:5], -1
	buffer_load_dword v63, off, s[0:3], s32 offset:236 ; 4-byte Folded Reload
	s_mov_b64 exec, s[4:5]
	s_waitcnt vmcnt(0) lgkmcnt(0)
	s_setpc_b64 s[30:31]
.Lfunc_end4:
	.size	_ZN12_GLOBAL__N_17runRingI14__hip_fp8_e4m38FuncProdIS1_E7ProtoLLLi0ELi4ELi0EEEviiP15ncclDevWorkColl, .Lfunc_end4-_ZN12_GLOBAL__N_17runRingI14__hip_fp8_e4m38FuncProdIS1_E7ProtoLLLi0ELi4ELi0EEEviiP15ncclDevWorkColl
                                        ; -- End function
	.set .L_ZN12_GLOBAL__N_17runRingI14__hip_fp8_e4m38FuncProdIS1_E7ProtoLLLi0ELi4ELi0EEEviiP15ncclDevWorkColl.num_vgpr, 64
	.set .L_ZN12_GLOBAL__N_17runRingI14__hip_fp8_e4m38FuncProdIS1_E7ProtoLLLi0ELi4ELi0EEEviiP15ncclDevWorkColl.num_agpr, 0
	.set .L_ZN12_GLOBAL__N_17runRingI14__hip_fp8_e4m38FuncProdIS1_E7ProtoLLLi0ELi4ELi0EEEviiP15ncclDevWorkColl.numbered_sgpr, 96
	.set .L_ZN12_GLOBAL__N_17runRingI14__hip_fp8_e4m38FuncProdIS1_E7ProtoLLLi0ELi4ELi0EEEviiP15ncclDevWorkColl.num_named_barrier, 0
	.set .L_ZN12_GLOBAL__N_17runRingI14__hip_fp8_e4m38FuncProdIS1_E7ProtoLLLi0ELi4ELi0EEEviiP15ncclDevWorkColl.private_seg_size, 244
	.set .L_ZN12_GLOBAL__N_17runRingI14__hip_fp8_e4m38FuncProdIS1_E7ProtoLLLi0ELi4ELi0EEEviiP15ncclDevWorkColl.uses_vcc, 1
	.set .L_ZN12_GLOBAL__N_17runRingI14__hip_fp8_e4m38FuncProdIS1_E7ProtoLLLi0ELi4ELi0EEEviiP15ncclDevWorkColl.uses_flat_scratch, 0
	.set .L_ZN12_GLOBAL__N_17runRingI14__hip_fp8_e4m38FuncProdIS1_E7ProtoLLLi0ELi4ELi0EEEviiP15ncclDevWorkColl.has_dyn_sized_stack, 0
	.set .L_ZN12_GLOBAL__N_17runRingI14__hip_fp8_e4m38FuncProdIS1_E7ProtoLLLi0ELi4ELi0EEEviiP15ncclDevWorkColl.has_recursion, 0
	.set .L_ZN12_GLOBAL__N_17runRingI14__hip_fp8_e4m38FuncProdIS1_E7ProtoLLLi0ELi4ELi0EEEviiP15ncclDevWorkColl.has_indirect_call, 0
	.section	.AMDGPU.csdata,"",@progbits
; Function info:
; codeLenInByte = 20948
; TotalNumSgprs: 100
; NumVgprs: 64
; ScratchSize: 244
; MemoryBound: 0
	.text
	.p2align	2                               ; -- Begin function _Z51ncclDevFunc_ReduceScatter_RING_LL_Prod_f8e4m3_0_0_4v
	.type	_Z51ncclDevFunc_ReduceScatter_RING_LL_Prod_f8e4m3_0_0_4v,@function
_Z51ncclDevFunc_ReduceScatter_RING_LL_Prod_f8e4m3_0_0_4v: ; @_Z51ncclDevFunc_ReduceScatter_RING_LL_Prod_f8e4m3_0_0_4v
; %bb.0:
	s_waitcnt vmcnt(0) expcnt(0) lgkmcnt(0)
	s_mov_b32 s4, s33
	s_mov_b32 s33, s32
	s_or_saveexec_b64 s[6:7], -1
	buffer_store_dword v43, off, s[0:3], s33 offset:16 ; 4-byte Folded Spill
	s_mov_b64 exec, s[6:7]
	v_writelane_b32 v43, s4, 15
	s_addk_i32 s32, 0x800
	buffer_store_dword v40, off, s[0:3], s33 offset:12 ; 4-byte Folded Spill
	buffer_store_dword v41, off, s[0:3], s33 offset:8 ; 4-byte Folded Spill
	;; [unrolled: 1-line block ×3, first 2 shown]
	buffer_store_dword v63, off, s[0:3], s33 ; 4-byte Folded Spill
	v_writelane_b32 v43, s34, 0
	v_writelane_b32 v43, s35, 1
	;; [unrolled: 1-line block ×15, first 2 shown]
	s_trap 2
	ds_read_b32 v0, v0
	v_mov_b32_e32 v40, v31
	s_mov_b32 s49, s12
	s_mov_b64 s[50:51], s[8:9]
	s_waitcnt lgkmcnt(0)
	v_cmp_gt_i32_e32 vcc, 1, v0
	s_cbranch_vccnz .LBB5_8
; %bb.1:
	s_mov_b32 s54, 0
	v_and_b32_e32 v41, 0x3ff, v40
	v_mov_b32_e32 v42, 6
	s_branch .LBB5_3
.LBB5_2:                                ;   in Loop: Header=BB5_3 Depth=1
	s_or_b64 exec, exec, s[52:53]
	s_trap 2
	ds_read_b32 v0, v0
	s_add_i32 s54, s54, 1
	s_waitcnt lgkmcnt(0)
	v_cmp_lt_i32_e32 vcc, s54, v0
	s_cbranch_vccz .LBB5_8
.LBB5_3:                                ; =>This Inner Loop Header: Depth=1
	s_trap 2
	ds_read_b32 v0, v0
	s_cmp_eq_u32 s54, 0
	s_cbranch_scc1 .LBB5_6
; %bb.4:                                ;   in Loop: Header=BB5_3 Depth=1
	s_trap 2
	s_waitcnt lgkmcnt(0)
	ds_read_b32 v1, v0
	s_waitcnt lgkmcnt(0)
	v_xor_b32_e32 v1, v1, v0
	v_and_b32_e32 v1, 0xff0000, v1
	v_cmp_eq_u32_e32 vcc, 0, v1
	s_cbranch_vccnz .LBB5_6
; %bb.5:                                ;   in Loop: Header=BB5_3 Depth=1
	s_waitcnt vmcnt(0)
	s_barrier
	ds_read_b32 v0, v0
.LBB5_6:                                ;   in Loop: Header=BB5_3 Depth=1
	s_waitcnt lgkmcnt(0)
	v_lshlrev_b32_sdwa v1, v42, v0 dst_sel:DWORD dst_unused:UNUSED_PAD src0_sel:DWORD src1_sel:BYTE_2
	v_cmp_lt_u32_e32 vcc, v41, v1
	s_and_saveexec_b64 s[52:53], vcc
	s_cbranch_execz .LBB5_2
; %bb.7:                                ;   in Loop: Header=BB5_3 Depth=1
	s_mov_b64 s[4:5], src_shared_base
	s_getpc_b64 s[6:7]
	s_add_u32 s6, s6, _ZN12_GLOBAL__N_17runRingI14__hip_fp8_e4m38FuncProdIS1_E7ProtoLLLi0ELi4ELi0EEEviiP15ncclDevWorkColl@rel32@lo+4
	s_addc_u32 s7, s7, _ZN12_GLOBAL__N_17runRingI14__hip_fp8_e4m38FuncProdIS1_E7ProtoLLLi0ELi4ELi0EEEviiP15ncclDevWorkColl@rel32@hi+12
	s_mov_b64 s[8:9], s[50:51]
	s_mov_b32 s12, s49
	v_mov_b32_e32 v31, v40
	v_mov_b32_e32 v0, v41
	;; [unrolled: 1-line block ×3, first 2 shown]
	s_swappc_b64 s[30:31], s[6:7]
	s_branch .LBB5_2
.LBB5_8:
	buffer_load_dword v63, off, s[0:3], s33 ; 4-byte Folded Reload
	buffer_load_dword v42, off, s[0:3], s33 offset:4 ; 4-byte Folded Reload
	buffer_load_dword v41, off, s[0:3], s33 offset:8 ; 4-byte Folded Reload
	;; [unrolled: 1-line block ×3, first 2 shown]
	v_readlane_b32 s30, v43, 13
	v_readlane_b32 s31, v43, 14
	;; [unrolled: 1-line block ×15, first 2 shown]
	s_mov_b32 s32, s33
	v_readlane_b32 s4, v43, 15
	s_or_saveexec_b64 s[6:7], -1
	buffer_load_dword v43, off, s[0:3], s33 offset:16 ; 4-byte Folded Reload
	s_mov_b64 exec, s[6:7]
	s_mov_b32 s33, s4
	s_waitcnt vmcnt(0)
	s_setpc_b64 s[30:31]
.Lfunc_end5:
	.size	_Z51ncclDevFunc_ReduceScatter_RING_LL_Prod_f8e4m3_0_0_4v, .Lfunc_end5-_Z51ncclDevFunc_ReduceScatter_RING_LL_Prod_f8e4m3_0_0_4v
                                        ; -- End function
	.set .L_Z51ncclDevFunc_ReduceScatter_RING_LL_Prod_f8e4m3_0_0_4v.num_vgpr, max(64, .L_ZN12_GLOBAL__N_17runRingI14__hip_fp8_e4m38FuncProdIS1_E7ProtoLLLi0ELi4ELi0EEEviiP15ncclDevWorkColl.num_vgpr)
	.set .L_Z51ncclDevFunc_ReduceScatter_RING_LL_Prod_f8e4m3_0_0_4v.num_agpr, max(0, .L_ZN12_GLOBAL__N_17runRingI14__hip_fp8_e4m38FuncProdIS1_E7ProtoLLLi0ELi4ELi0EEEviiP15ncclDevWorkColl.num_agpr)
	.set .L_Z51ncclDevFunc_ReduceScatter_RING_LL_Prod_f8e4m3_0_0_4v.numbered_sgpr, max(55, .L_ZN12_GLOBAL__N_17runRingI14__hip_fp8_e4m38FuncProdIS1_E7ProtoLLLi0ELi4ELi0EEEviiP15ncclDevWorkColl.numbered_sgpr)
	.set .L_Z51ncclDevFunc_ReduceScatter_RING_LL_Prod_f8e4m3_0_0_4v.num_named_barrier, max(0, .L_ZN12_GLOBAL__N_17runRingI14__hip_fp8_e4m38FuncProdIS1_E7ProtoLLLi0ELi4ELi0EEEviiP15ncclDevWorkColl.num_named_barrier)
	.set .L_Z51ncclDevFunc_ReduceScatter_RING_LL_Prod_f8e4m3_0_0_4v.private_seg_size, 32+max(.L_ZN12_GLOBAL__N_17runRingI14__hip_fp8_e4m38FuncProdIS1_E7ProtoLLLi0ELi4ELi0EEEviiP15ncclDevWorkColl.private_seg_size)
	.set .L_Z51ncclDevFunc_ReduceScatter_RING_LL_Prod_f8e4m3_0_0_4v.uses_vcc, or(1, .L_ZN12_GLOBAL__N_17runRingI14__hip_fp8_e4m38FuncProdIS1_E7ProtoLLLi0ELi4ELi0EEEviiP15ncclDevWorkColl.uses_vcc)
	.set .L_Z51ncclDevFunc_ReduceScatter_RING_LL_Prod_f8e4m3_0_0_4v.uses_flat_scratch, or(0, .L_ZN12_GLOBAL__N_17runRingI14__hip_fp8_e4m38FuncProdIS1_E7ProtoLLLi0ELi4ELi0EEEviiP15ncclDevWorkColl.uses_flat_scratch)
	.set .L_Z51ncclDevFunc_ReduceScatter_RING_LL_Prod_f8e4m3_0_0_4v.has_dyn_sized_stack, or(0, .L_ZN12_GLOBAL__N_17runRingI14__hip_fp8_e4m38FuncProdIS1_E7ProtoLLLi0ELi4ELi0EEEviiP15ncclDevWorkColl.has_dyn_sized_stack)
	.set .L_Z51ncclDevFunc_ReduceScatter_RING_LL_Prod_f8e4m3_0_0_4v.has_recursion, or(1, .L_ZN12_GLOBAL__N_17runRingI14__hip_fp8_e4m38FuncProdIS1_E7ProtoLLLi0ELi4ELi0EEEviiP15ncclDevWorkColl.has_recursion)
	.set .L_Z51ncclDevFunc_ReduceScatter_RING_LL_Prod_f8e4m3_0_0_4v.has_indirect_call, or(0, .L_ZN12_GLOBAL__N_17runRingI14__hip_fp8_e4m38FuncProdIS1_E7ProtoLLLi0ELi4ELi0EEEviiP15ncclDevWorkColl.has_indirect_call)
	.section	.AMDGPU.csdata,"",@progbits
; Function info:
; codeLenInByte = 624
; TotalNumSgprs: 100
; NumVgprs: 64
; ScratchSize: 276
; MemoryBound: 0
	.section	.AMDGPU.gpr_maximums,"",@progbits
	.set amdgpu.max_num_vgpr, 64
	.set amdgpu.max_num_agpr, 0
	.set amdgpu.max_num_sgpr, 96
	.section	.AMDGPU.csdata,"",@progbits
	.type	__hip_cuid_b6592acbe2cc03d3,@object ; @__hip_cuid_b6592acbe2cc03d3
	.section	.bss,"aw",@nobits
	.globl	__hip_cuid_b6592acbe2cc03d3
__hip_cuid_b6592acbe2cc03d3:
	.byte	0                               ; 0x0
	.size	__hip_cuid_b6592acbe2cc03d3, 1

	.ident	"AMD clang version 22.0.0git (https://github.com/RadeonOpenCompute/llvm-project roc-7.2.4 26084 f58b06dce1f9c15707c5f808fd002e18c2accf7e)"
	.section	".note.GNU-stack","",@progbits
	.addrsig
	.addrsig_sym _Z51ncclDevFunc_ReduceScatter_RING_LL_Prod_f8e4m3_0_0_1v
	.addrsig_sym _Z51ncclDevFunc_ReduceScatter_RING_LL_Prod_f8e4m3_0_0_2v
	.addrsig_sym _Z51ncclDevFunc_ReduceScatter_RING_LL_Prod_f8e4m3_0_0_4v
	.addrsig_sym ncclShmem
	.addrsig_sym __hip_cuid_b6592acbe2cc03d3
	.amdgpu_metadata
---
amdhsa.kernels:  []
amdhsa.target:   amdgcn-amd-amdhsa--gfx906
amdhsa.version:
  - 1
  - 2
...

	.end_amdgpu_metadata
